;; amdgpu-corpus repo=ROCm/rocFFT kind=compiled arch=gfx1030 opt=O3
	.text
	.amdgcn_target "amdgcn-amd-amdhsa--gfx1030"
	.amdhsa_code_object_version 6
	.protected	fft_rtc_back_len1188_factors_6_11_2_3_3_wgs_198_tpt_66_halfLds_half_ip_CI_unitstride_sbrr_dirReg ; -- Begin function fft_rtc_back_len1188_factors_6_11_2_3_3_wgs_198_tpt_66_halfLds_half_ip_CI_unitstride_sbrr_dirReg
	.globl	fft_rtc_back_len1188_factors_6_11_2_3_3_wgs_198_tpt_66_halfLds_half_ip_CI_unitstride_sbrr_dirReg
	.p2align	8
	.type	fft_rtc_back_len1188_factors_6_11_2_3_3_wgs_198_tpt_66_halfLds_half_ip_CI_unitstride_sbrr_dirReg,@function
fft_rtc_back_len1188_factors_6_11_2_3_3_wgs_198_tpt_66_halfLds_half_ip_CI_unitstride_sbrr_dirReg: ; @fft_rtc_back_len1188_factors_6_11_2_3_3_wgs_198_tpt_66_halfLds_half_ip_CI_unitstride_sbrr_dirReg
; %bb.0:
	s_load_dwordx4 s[8:11], s[4:5], 0x0
	v_mul_u32_u24_e32 v1, 0x3e1, v0
	s_clause 0x1
	s_load_dwordx2 s[2:3], s[4:5], 0x50
	s_load_dwordx2 s[12:13], s[4:5], 0x18
	v_mov_b32_e32 v3, 0
	v_mov_b32_e32 v5, 0
	;; [unrolled: 1-line block ×3, first 2 shown]
	v_lshrrev_b32_e32 v1, 16, v1
	v_mad_u64_u32 v[1:2], null, s6, 3, v[1:2]
	v_mov_b32_e32 v2, v3
	v_mov_b32_e32 v10, v2
	;; [unrolled: 1-line block ×3, first 2 shown]
	s_waitcnt lgkmcnt(0)
	v_cmp_lt_u64_e64 s0, s[10:11], 2
	s_and_b32 vcc_lo, exec_lo, s0
	s_cbranch_vccnz .LBB0_8
; %bb.1:
	s_load_dwordx2 s[0:1], s[4:5], 0x10
	v_mov_b32_e32 v5, 0
	v_mov_b32_e32 v8, v2
	s_add_u32 s6, s12, 8
	v_mov_b32_e32 v6, 0
	v_mov_b32_e32 v7, v1
	s_addc_u32 s7, s13, 0
	s_mov_b64 s[16:17], 1
	s_waitcnt lgkmcnt(0)
	s_add_u32 s14, s0, 8
	s_addc_u32 s15, s1, 0
.LBB0_2:                                ; =>This Inner Loop Header: Depth=1
	s_load_dwordx2 s[18:19], s[14:15], 0x0
                                        ; implicit-def: $vgpr9_vgpr10
	s_mov_b32 s0, exec_lo
	s_waitcnt lgkmcnt(0)
	v_or_b32_e32 v4, s19, v8
	v_cmpx_ne_u64_e32 0, v[3:4]
	s_xor_b32 s1, exec_lo, s0
	s_cbranch_execz .LBB0_4
; %bb.3:                                ;   in Loop: Header=BB0_2 Depth=1
	v_cvt_f32_u32_e32 v2, s18
	v_cvt_f32_u32_e32 v4, s19
	s_sub_u32 s0, 0, s18
	s_subb_u32 s20, 0, s19
	v_fmac_f32_e32 v2, 0x4f800000, v4
	v_rcp_f32_e32 v2, v2
	v_mul_f32_e32 v2, 0x5f7ffffc, v2
	v_mul_f32_e32 v4, 0x2f800000, v2
	v_trunc_f32_e32 v4, v4
	v_fmac_f32_e32 v2, 0xcf800000, v4
	v_cvt_u32_f32_e32 v4, v4
	v_cvt_u32_f32_e32 v2, v2
	v_mul_lo_u32 v9, s0, v4
	v_mul_hi_u32 v10, s0, v2
	v_mul_lo_u32 v11, s20, v2
	v_add_nc_u32_e32 v9, v10, v9
	v_mul_lo_u32 v10, s0, v2
	v_add_nc_u32_e32 v9, v9, v11
	v_mul_hi_u32 v11, v2, v10
	v_mul_lo_u32 v12, v2, v9
	v_mul_hi_u32 v13, v2, v9
	v_mul_hi_u32 v14, v4, v10
	v_mul_lo_u32 v10, v4, v10
	v_mul_hi_u32 v15, v4, v9
	v_mul_lo_u32 v9, v4, v9
	v_add_co_u32 v11, vcc_lo, v11, v12
	v_add_co_ci_u32_e32 v12, vcc_lo, 0, v13, vcc_lo
	v_add_co_u32 v10, vcc_lo, v11, v10
	v_add_co_ci_u32_e32 v10, vcc_lo, v12, v14, vcc_lo
	v_add_co_ci_u32_e32 v11, vcc_lo, 0, v15, vcc_lo
	v_add_co_u32 v9, vcc_lo, v10, v9
	v_add_co_ci_u32_e32 v10, vcc_lo, 0, v11, vcc_lo
	v_add_co_u32 v2, vcc_lo, v2, v9
	v_add_co_ci_u32_e32 v4, vcc_lo, v4, v10, vcc_lo
	v_mul_hi_u32 v9, s0, v2
	v_mul_lo_u32 v11, s20, v2
	v_mul_lo_u32 v10, s0, v4
	v_add_nc_u32_e32 v9, v9, v10
	v_mul_lo_u32 v10, s0, v2
	v_add_nc_u32_e32 v9, v9, v11
	v_mul_hi_u32 v11, v2, v10
	v_mul_lo_u32 v12, v2, v9
	v_mul_hi_u32 v13, v2, v9
	v_mul_hi_u32 v14, v4, v10
	v_mul_lo_u32 v10, v4, v10
	v_mul_hi_u32 v15, v4, v9
	v_mul_lo_u32 v9, v4, v9
	v_add_co_u32 v11, vcc_lo, v11, v12
	v_add_co_ci_u32_e32 v12, vcc_lo, 0, v13, vcc_lo
	v_add_co_u32 v10, vcc_lo, v11, v10
	v_add_co_ci_u32_e32 v10, vcc_lo, v12, v14, vcc_lo
	v_add_co_ci_u32_e32 v11, vcc_lo, 0, v15, vcc_lo
	v_add_co_u32 v9, vcc_lo, v10, v9
	v_add_co_ci_u32_e32 v10, vcc_lo, 0, v11, vcc_lo
	v_add_co_u32 v2, vcc_lo, v2, v9
	v_add_co_ci_u32_e32 v4, vcc_lo, v4, v10, vcc_lo
	v_mul_hi_u32 v15, v7, v2
	v_mad_u64_u32 v[11:12], null, v8, v2, 0
	v_mad_u64_u32 v[9:10], null, v7, v4, 0
	v_mad_u64_u32 v[13:14], null, v8, v4, 0
	v_add_co_u32 v2, vcc_lo, v15, v9
	v_add_co_ci_u32_e32 v4, vcc_lo, 0, v10, vcc_lo
	v_add_co_u32 v2, vcc_lo, v2, v11
	v_add_co_ci_u32_e32 v2, vcc_lo, v4, v12, vcc_lo
	v_add_co_ci_u32_e32 v4, vcc_lo, 0, v14, vcc_lo
	v_add_co_u32 v2, vcc_lo, v2, v13
	v_add_co_ci_u32_e32 v4, vcc_lo, 0, v4, vcc_lo
	v_mul_lo_u32 v11, s19, v2
	v_mad_u64_u32 v[9:10], null, s18, v2, 0
	v_mul_lo_u32 v12, s18, v4
	v_sub_co_u32 v9, vcc_lo, v7, v9
	v_add3_u32 v10, v10, v12, v11
	v_sub_nc_u32_e32 v11, v8, v10
	v_subrev_co_ci_u32_e64 v11, s0, s19, v11, vcc_lo
	v_add_co_u32 v12, s0, v2, 2
	v_add_co_ci_u32_e64 v13, s0, 0, v4, s0
	v_sub_co_u32 v14, s0, v9, s18
	v_sub_co_ci_u32_e32 v10, vcc_lo, v8, v10, vcc_lo
	v_subrev_co_ci_u32_e64 v11, s0, 0, v11, s0
	v_cmp_le_u32_e32 vcc_lo, s18, v14
	v_cmp_eq_u32_e64 s0, s19, v10
	v_cndmask_b32_e64 v14, 0, -1, vcc_lo
	v_cmp_le_u32_e32 vcc_lo, s19, v11
	v_cndmask_b32_e64 v15, 0, -1, vcc_lo
	v_cmp_le_u32_e32 vcc_lo, s18, v9
	;; [unrolled: 2-line block ×3, first 2 shown]
	v_cndmask_b32_e64 v16, 0, -1, vcc_lo
	v_cmp_eq_u32_e32 vcc_lo, s19, v11
	v_cndmask_b32_e64 v9, v16, v9, s0
	v_cndmask_b32_e32 v11, v15, v14, vcc_lo
	v_add_co_u32 v14, vcc_lo, v2, 1
	v_add_co_ci_u32_e32 v15, vcc_lo, 0, v4, vcc_lo
	v_cmp_ne_u32_e32 vcc_lo, 0, v11
	v_cndmask_b32_e32 v10, v15, v13, vcc_lo
	v_cndmask_b32_e32 v11, v14, v12, vcc_lo
	v_cmp_ne_u32_e32 vcc_lo, 0, v9
	v_cndmask_b32_e32 v10, v4, v10, vcc_lo
	v_cndmask_b32_e32 v9, v2, v11, vcc_lo
.LBB0_4:                                ;   in Loop: Header=BB0_2 Depth=1
	s_andn2_saveexec_b32 s0, s1
	s_cbranch_execz .LBB0_6
; %bb.5:                                ;   in Loop: Header=BB0_2 Depth=1
	v_cvt_f32_u32_e32 v2, s18
	s_sub_i32 s1, 0, s18
	v_rcp_iflag_f32_e32 v2, v2
	v_mul_f32_e32 v2, 0x4f7ffffe, v2
	v_cvt_u32_f32_e32 v2, v2
	v_mul_lo_u32 v4, s1, v2
	v_mul_hi_u32 v4, v2, v4
	v_add_nc_u32_e32 v2, v2, v4
	v_mul_hi_u32 v2, v7, v2
	v_mul_lo_u32 v4, v2, s18
	v_add_nc_u32_e32 v9, 1, v2
	v_sub_nc_u32_e32 v4, v7, v4
	v_subrev_nc_u32_e32 v10, s18, v4
	v_cmp_le_u32_e32 vcc_lo, s18, v4
	v_cndmask_b32_e32 v4, v4, v10, vcc_lo
	v_cndmask_b32_e32 v2, v2, v9, vcc_lo
	v_mov_b32_e32 v10, v3
	v_cmp_le_u32_e32 vcc_lo, s18, v4
	v_add_nc_u32_e32 v9, 1, v2
	v_cndmask_b32_e32 v9, v2, v9, vcc_lo
.LBB0_6:                                ;   in Loop: Header=BB0_2 Depth=1
	s_or_b32 exec_lo, exec_lo, s0
	s_load_dwordx2 s[0:1], s[6:7], 0x0
	v_mul_lo_u32 v2, v10, s18
	v_mul_lo_u32 v4, v9, s19
	v_mad_u64_u32 v[11:12], null, v9, s18, 0
	s_add_u32 s16, s16, 1
	s_addc_u32 s17, s17, 0
	s_add_u32 s6, s6, 8
	s_addc_u32 s7, s7, 0
	;; [unrolled: 2-line block ×3, first 2 shown]
	v_add3_u32 v2, v12, v4, v2
	v_sub_co_u32 v4, vcc_lo, v7, v11
	v_sub_co_ci_u32_e32 v2, vcc_lo, v8, v2, vcc_lo
	s_waitcnt lgkmcnt(0)
	v_mul_lo_u32 v7, s1, v4
	v_mul_lo_u32 v2, s0, v2
	v_mad_u64_u32 v[5:6], null, s0, v4, v[5:6]
	v_cmp_ge_u64_e64 s0, s[16:17], s[10:11]
	s_and_b32 vcc_lo, exec_lo, s0
	v_add3_u32 v6, v7, v6, v2
	s_cbranch_vccnz .LBB0_8
; %bb.7:                                ;   in Loop: Header=BB0_2 Depth=1
	v_mov_b32_e32 v7, v9
	v_mov_b32_e32 v8, v10
	s_branch .LBB0_2
.LBB0_8:
	s_lshl_b64 s[0:1], s[10:11], 3
                                        ; implicit-def: $vgpr13
                                        ; implicit-def: $vgpr26
                                        ; implicit-def: $vgpr31
                                        ; implicit-def: $vgpr55
                                        ; implicit-def: $vgpr56
                                        ; implicit-def: $vgpr36
                                        ; implicit-def: $vgpr32
                                        ; implicit-def: $vgpr23
                                        ; implicit-def: $vgpr46
                                        ; implicit-def: $vgpr35
                                        ; implicit-def: $vgpr20
                                        ; implicit-def: $vgpr21
                                        ; implicit-def: $vgpr28
                                        ; implicit-def: $vgpr29
                                        ; implicit-def: $vgpr34
                                        ; implicit-def: $vgpr24
                                        ; implicit-def: $vgpr11
                                        ; implicit-def: $vgpr22
                                        ; implicit-def: $vgpr33
                                        ; implicit-def: $vgpr25
                                        ; implicit-def: $vgpr15
                                        ; implicit-def: $vgpr8
                                        ; implicit-def: $vgpr14
                                        ; implicit-def: $vgpr30
                                        ; implicit-def: $vgpr17
                                        ; implicit-def: $vgpr12
                                        ; implicit-def: $vgpr27
	s_add_u32 s0, s12, s0
	s_addc_u32 s1, s13, s1
	s_load_dwordx2 s[0:1], s[0:1], 0x0
	s_load_dwordx2 s[4:5], s[4:5], 0x20
	s_waitcnt lgkmcnt(0)
	v_mul_lo_u32 v4, s0, v10
	v_mul_lo_u32 v7, s1, v9
	v_mad_u64_u32 v[2:3], null, s0, v9, v[5:6]
	v_mul_hi_u32 v5, 0x3e0f83f, v0
	v_cmp_gt_u64_e32 vcc_lo, s[4:5], v[9:10]
                                        ; implicit-def: $vgpr6
                                        ; implicit-def: $vgpr10
                                        ; implicit-def: $vgpr9
	v_add3_u32 v3, v7, v3, v4
                                        ; implicit-def: $vgpr7
	v_mul_u32_u24_e32 v4, 0x42, v5
                                        ; implicit-def: $vgpr5
	v_lshlrev_b64 v[18:19], 2, v[2:3]
                                        ; implicit-def: $vgpr3
                                        ; implicit-def: $vgpr2
	v_sub_nc_u32_e32 v16, v0, v4
                                        ; implicit-def: $vgpr4
                                        ; implicit-def: $vgpr0
	s_and_saveexec_b32 s1, vcc_lo
	s_cbranch_execz .LBB0_10
; %bb.9:
	v_mov_b32_e32 v17, 0
	v_add_co_u32 v0, s0, s2, v18
	v_add_co_ci_u32_e64 v4, s0, s3, v19, s0
	v_lshlrev_b64 v[2:3], 2, v[16:17]
	v_add_co_u32 v8, s0, v0, v2
	v_add_co_ci_u32_e64 v9, s0, v4, v3, s0
	s_clause 0x5
	global_load_dword v26, v[8:9], off
	global_load_dword v20, v[8:9], off offset:264
	global_load_dword v3, v[8:9], off offset:792
	;; [unrolled: 1-line block ×5, first 2 shown]
	v_add_co_u32 v12, s0, 0x800, v8
	v_add_co_ci_u32_e64 v13, s0, 0, v9, s0
	v_add_co_u32 v14, s0, 0x1000, v8
	v_add_co_ci_u32_e64 v15, s0, 0, v9, s0
	s_clause 0xb
	global_load_dword v2, v[8:9], off offset:1320
	global_load_dword v25, v[8:9], off offset:528
	;; [unrolled: 1-line block ×12, first 2 shown]
	s_waitcnt vmcnt(17)
	v_lshrrev_b32_e32 v13, 16, v26
	s_waitcnt vmcnt(16)
	v_lshrrev_b32_e32 v4, 16, v20
	;; [unrolled: 2-line block ×7, first 2 shown]
	v_lshrrev_b32_e32 v10, 16, v2
	s_waitcnt vmcnt(9)
	v_lshrrev_b32_e32 v56, 16, v36
	s_waitcnt vmcnt(7)
	;; [unrolled: 2-line block ×3, first 2 shown]
	v_lshrrev_b32_e32 v46, 16, v35
	v_lshrrev_b32_e32 v29, 16, v34
	;; [unrolled: 1-line block ×3, first 2 shown]
	s_waitcnt vmcnt(4)
	v_lshrrev_b32_e32 v22, 16, v33
	s_waitcnt vmcnt(1)
	v_lshrrev_b32_e32 v15, 16, v8
	v_lshrrev_b32_e32 v14, 16, v30
	;; [unrolled: 1-line block ×3, first 2 shown]
	s_waitcnt vmcnt(0)
	v_lshrrev_b32_e32 v12, 16, v27
.LBB0_10:
	s_or_b32 exec_lo, exec_lo, s1
	v_mul_hi_u32 v37, 0xaaaaaaab, v1
	v_add_f16_e32 v39, v7, v23
	v_add_f16_e32 v43, v36, v35
	;; [unrolled: 1-line block ×3, first 2 shown]
	v_sub_f16_e32 v40, v55, v32
	v_add_f16_e32 v41, v3, v36
	v_add_f16_e32 v42, v56, v46
	v_sub_f16_e32 v44, v56, v46
	v_lshrrev_b32_e32 v37, 1, v37
	v_fmac_f16_e32 v3, -0.5, v43
	v_fmac_f16_e32 v26, -0.5, v39
	v_sub_f16_e32 v36, v36, v35
	v_fma_f16 v57, -0.5, v42, v31
	v_lshl_add_u32 v37, v37, 1, v37
	v_add_f16_e32 v38, v38, v23
	v_fmamk_f16 v59, v44, 0xbaee, v3
	v_fmac_f16_e32 v3, 0x3aee, v44
	v_fmamk_f16 v39, v40, 0xbaee, v26
	v_sub_nc_u32_e32 v1, v1, v37
	v_add_f16_e32 v35, v41, v35
	v_fmac_f16_e32 v26, 0x3aee, v40
	v_add_f16_e32 v44, v29, v22
	v_fmamk_f16 v58, v36, 0x3aee, v57
	v_mul_u32_u24_e32 v40, 0x4a4, v1
	v_add_f16_e32 v1, v20, v5
	v_add_f16_e32 v41, v38, v35
	v_sub_f16_e32 v38, v38, v35
	v_add_f16_e32 v45, v34, v33
	v_fmac_f16_e32 v57, 0xbaee, v36
	v_add_f16_e32 v35, v1, v11
	v_fma_f16 v1, -0.5, v44, v21
	v_sub_f16_e32 v44, v34, v33
	v_add_f16_e32 v34, v0, v34
	v_mul_f16_e32 v36, 0xbaee, v58
	v_add_f16_e32 v47, v5, v11
	v_fmac_f16_e32 v0, -0.5, v45
	v_sub_f16_e32 v45, v29, v22
	v_add_f16_e32 v33, v34, v33
	v_fmac_f16_e32 v36, 0.5, v59
	v_fmac_f16_e32 v20, -0.5, v47
	v_fmamk_f16 v60, v44, 0x3aee, v1
	v_fmac_f16_e32 v1, 0xbaee, v44
	v_sub_f16_e32 v44, v28, v24
	v_add_f16_e32 v49, v35, v33
	v_add_f16_e32 v34, v8, v9
	v_sub_f16_e32 v33, v35, v33
	v_add_f16_e32 v35, v14, v12
	v_mul_f16_e32 v37, 0xbaee, v57
	v_add_f16_e32 v42, v39, v36
	v_fmamk_f16 v61, v45, 0xbaee, v0
	v_fmac_f16_e32 v0, 0x3aee, v45
	v_mul_f16_e32 v45, 0xbaee, v60
	v_fmamk_f16 v48, v44, 0xbaee, v20
	v_fmac_f16_e32 v20, 0x3aee, v44
	v_sub_f16_e32 v44, v39, v36
	v_add_f16_e32 v36, v25, v8
	v_fmac_f16_e32 v25, -0.5, v34
	v_add_f16_e32 v34, v30, v27
	v_fma_f16 v62, -0.5, v35, v10
	v_sub_f16_e32 v35, v30, v27
	v_fmac_f16_e32 v37, -0.5, v3
	v_mul_f16_e32 v47, 0xbaee, v1
	v_fmac_f16_e32 v45, 0.5, v61
	v_add_f16_e32 v39, v2, v30
	v_fmac_f16_e32 v2, -0.5, v34
	v_sub_f16_e32 v34, v14, v12
	v_fmamk_f16 v63, v35, 0x3aee, v62
	v_fmac_f16_e32 v62, 0xbaee, v35
	v_add_f16_e32 v43, v26, v37
	v_fmac_f16_e32 v47, -0.5, v0
	v_sub_f16_e32 v26, v26, v37
	v_add_f16_e32 v50, v48, v45
	v_sub_f16_e32 v45, v48, v45
	v_sub_f16_e32 v37, v15, v17
	v_fmamk_f16 v66, v34, 0xbaee, v2
	v_mul_f16_e32 v48, 0xbaee, v63
	v_add_f16_e32 v39, v39, v27
	v_lshlrev_b32_e32 v27, 1, v40
	v_fmac_f16_e32 v2, 0x3aee, v34
	v_mul_f16_e32 v40, 0xbaee, v62
	v_add_f16_e32 v51, v20, v47
	v_sub_f16_e32 v30, v20, v47
	v_add_f16_e32 v20, v36, v9
	v_fmamk_f16 v47, v37, 0xbaee, v25
	v_fmac_f16_e32 v48, 0.5, v66
	v_mul_u32_u24_e32 v36, 6, v16
	v_add_nc_u32_e32 v52, 0, v27
	v_fmac_f16_e32 v25, 0x3aee, v37
	v_fmac_f16_e32 v40, -0.5, v2
	v_add_f16_e32 v34, v20, v39
	v_add_f16_e32 v35, v47, v48
	v_lshl_add_u32 v64, v36, 1, v52
	v_pack_b32_f16 v43, v43, v38
	v_pack_b32_f16 v41, v41, v42
	v_add_f16_e32 v36, v25, v40
	v_sub_f16_e32 v37, v20, v39
	v_sub_f16_e32 v39, v25, v40
	v_pack_b32_f16 v25, v44, v26
	v_pack_b32_f16 v26, v51, v33
	;; [unrolled: 1-line block ×3, first 2 shown]
	v_lshlrev_b32_e32 v20, 1, v16
	v_sub_f16_e32 v38, v47, v48
	v_pack_b32_f16 v40, v45, v30
	ds_write2_b32 v64, v41, v43 offset1:1
	v_add_nc_u32_e32 v65, 0x630, v64
	v_pack_b32_f16 v41, v36, v37
	v_pack_b32_f16 v42, v34, v35
	ds_write2_b32 v64, v33, v26 offset0:198 offset1:199
	v_add_nc_u32_e32 v26, 0, v20
	v_pack_b32_f16 v43, v38, v39
	ds_write2_b32 v64, v25, v40 offset0:2 offset1:200
	ds_write2_b32 v65, v42, v41 offset1:1
	ds_write_b32 v64, v43 offset:1592
	v_add_nc_u32_e32 v25, v52, v20
	v_add_nc_u32_e32 v26, v26, v27
	s_waitcnt lgkmcnt(0)
	s_barrier
	buffer_gl0_inv
	ds_read_u16 v33, v25
	ds_read_u16 v54, v26 offset:216
	ds_read_u16 v53, v26 offset:432
	;; [unrolled: 1-line block ×10, first 2 shown]
	v_cmp_gt_u32_e64 s0, 42, v16
	v_add_nc_u32_e32 v67, 0x318, v64
                                        ; implicit-def: $vgpr40
                                        ; implicit-def: $vgpr41
                                        ; implicit-def: $vgpr42
                                        ; implicit-def: $vgpr43
	s_and_saveexec_b32 s1, s0
	s_cbranch_execz .LBB0_12
; %bb.11:
	ds_read_u16 v30, v26 offset:132
	ds_read_u16 v34, v26 offset:348
	;; [unrolled: 1-line block ×11, first 2 shown]
.LBB0_12:
	s_or_b32 exec_lo, exec_lo, s1
	v_sub_f16_e32 v7, v7, v23
	v_add_f16_e32 v23, v31, v56
	v_mul_f16_e32 v56, -0.5, v57
	v_add_f16_e32 v57, v28, v24
	v_add_f16_e32 v68, v55, v32
	;; [unrolled: 1-line block ×4, first 2 shown]
	v_sub_f16_e32 v5, v5, v11
	v_fmac_f16_e32 v4, -0.5, v57
	v_add_f16_e32 v55, v13, v55
	v_mul_f16_e32 v31, 0x3aee, v59
	v_fmac_f16_e32 v13, -0.5, v68
	v_add_f16_e32 v21, v21, v22
	v_fmamk_f16 v22, v5, 0x3aee, v4
	v_fmac_f16_e32 v4, 0xbaee, v5
	v_add_f16_e32 v5, v15, v17
	v_add_f16_e32 v32, v55, v32
	;; [unrolled: 1-line block ×3, first 2 shown]
	v_fmac_f16_e32 v31, 0.5, v58
	v_fmamk_f16 v46, v7, 0x3aee, v13
	v_fmac_f16_e32 v56, 0x3aee, v3
	v_fmac_f16_e32 v13, 0xbaee, v7
	v_mul_f16_e32 v1, -0.5, v1
	v_mul_f16_e32 v11, 0x3aee, v61
	v_add_f16_e32 v15, v6, v15
	v_fmac_f16_e32 v6, -0.5, v5
	v_sub_f16_e32 v5, v8, v9
	v_add_f16_e32 v9, v10, v14
	v_mul_f16_e32 v10, 0x3aee, v66
	v_mul_f16_e32 v14, -0.5, v62
	v_add_f16_e32 v3, v32, v23
	v_add_f16_e32 v7, v46, v31
	;; [unrolled: 1-line block ×3, first 2 shown]
	v_sub_f16_e32 v23, v32, v23
	v_fmac_f16_e32 v1, 0x3aee, v0
	v_add_f16_e32 v24, v28, v24
	v_fmac_f16_e32 v11, 0.5, v60
	v_add_f16_e32 v8, v15, v17
	v_fmamk_f16 v15, v5, 0x3aee, v6
	v_fmac_f16_e32 v6, 0xbaee, v5
	v_add_f16_e32 v5, v9, v12
	v_fmac_f16_e32 v10, 0.5, v63
	v_fmac_f16_e32 v14, 0x3aee, v2
	v_sub_f16_e32 v31, v46, v31
	v_sub_f16_e32 v13, v13, v56
	v_add_f16_e32 v32, v4, v1
	v_sub_f16_e32 v29, v4, v1
	v_pack_b32_f16 v1, v55, v23
	v_pack_b32_f16 v3, v3, v7
	v_add_f16_e32 v0, v24, v21
	v_add_f16_e32 v28, v22, v11
	v_sub_f16_e32 v21, v24, v21
	v_sub_f16_e32 v2, v22, v11
	v_add_f16_e32 v58, v8, v5
	v_add_f16_e32 v59, v15, v10
	;; [unrolled: 1-line block ×3, first 2 shown]
	v_sub_f16_e32 v61, v8, v5
	v_sub_f16_e32 v62, v15, v10
	;; [unrolled: 1-line block ×3, first 2 shown]
	s_waitcnt lgkmcnt(0)
	s_barrier
	buffer_gl0_inv
	ds_write2_b32 v64, v3, v1 offset1:1
	v_pack_b32_f16 v1, v31, v13
	v_pack_b32_f16 v3, v32, v21
	;; [unrolled: 1-line block ×7, first 2 shown]
	ds_write_b32 v64, v1 offset:8
	ds_write2_b32 v67, v0, v3 offset1:1
	ds_write_b32 v67, v2 offset:8
	ds_write2_b32 v65, v5, v4 offset1:1
	ds_write_b32 v65, v6 offset:8
	s_waitcnt lgkmcnt(0)
	s_barrier
	buffer_gl0_inv
	ds_read_u16 v31, v25
	ds_read_u16 v79, v26 offset:216
	ds_read_u16 v78, v26 offset:432
	;; [unrolled: 1-line block ×10, first 2 shown]
                                        ; implicit-def: $vgpr66
                                        ; implicit-def: $vgpr67
                                        ; implicit-def: $vgpr68
                                        ; implicit-def: $vgpr69
	s_and_saveexec_b32 s1, s0
	s_cbranch_execz .LBB0_14
; %bb.13:
	ds_read_u16 v29, v26 offset:132
	ds_read_u16 v58, v26 offset:348
	ds_read_u16 v59, v26 offset:564
	ds_read_u16 v60, v26 offset:780
	ds_read_u16 v61, v26 offset:996
	ds_read_u16 v62, v26 offset:1212
	ds_read_u16 v63, v26 offset:1428
	ds_read_u16 v69, v26 offset:1644
	ds_read_u16 v68, v26 offset:1860
	ds_read_u16 v67, v26 offset:2076
	ds_read_u16 v66, v26 offset:2292
.LBB0_14:
	s_or_b32 exec_lo, exec_lo, s1
	v_and_b32_e32 v0, 0xff, v16
	v_add_nc_u32_e32 v28, 0x42, v16
	v_mov_b32_e32 v4, 10
	v_mov_b32_e32 v55, 1
	v_mul_lo_u16 v0, 0xab, v0
	v_and_b32_e32 v6, 0xff, v28
	v_lshrrev_b16 v32, 10, v0
	v_mul_lo_u16 v6, 0xab, v6
	v_mul_lo_u16 v0, v32, 6
	v_lshrrev_b16 v56, 10, v6
	v_and_b32_e32 v32, 0xffff, v32
	v_sub_nc_u16 v46, v16, v0
	v_mad_u32_u24 v57, 0x84, v32, 0
	v_and_b32_e32 v32, 0xffff, v56
	v_mul_u32_u24_sdwa v0, v46, v4 dst_sel:DWORD dst_unused:UNUSED_PAD src0_sel:BYTE_0 src1_sel:DWORD
	v_lshlrev_b32_sdwa v46, v55, v46 dst_sel:DWORD dst_unused:UNUSED_PAD src0_sel:DWORD src1_sel:BYTE_0
	v_lshlrev_b32_e32 v5, 2, v0
	v_add3_u32 v46, v57, v46, v27
	s_clause 0x2
	global_load_dwordx4 v[0:3], v5, s[8:9]
	global_load_dwordx4 v[12:15], v5, s[8:9] offset:16
	global_load_dwordx2 v[21:22], v5, s[8:9] offset:32
	v_mul_lo_u16 v5, v56, 6
	v_sub_nc_u16 v17, v28, v5
	v_mul_u32_u24_sdwa v4, v17, v4 dst_sel:DWORD dst_unused:UNUSED_PAD src0_sel:BYTE_0 src1_sel:DWORD
	v_lshlrev_b32_e32 v23, 2, v4
	s_clause 0x2
	global_load_dwordx4 v[4:7], v23, s[8:9]
	global_load_dwordx4 v[8:11], v23, s[8:9] offset:16
	global_load_dwordx2 v[23:24], v23, s[8:9] offset:32
	s_waitcnt vmcnt(0) lgkmcnt(0)
	s_barrier
	buffer_gl0_inv
	v_mul_f16_sdwa v84, v79, v0 dst_sel:DWORD dst_unused:UNUSED_PAD src0_sel:DWORD src1_sel:WORD_1
	v_mul_f16_sdwa v86, v54, v0 dst_sel:DWORD dst_unused:UNUSED_PAD src0_sel:DWORD src1_sel:WORD_1
	;; [unrolled: 1-line block ×20, first 2 shown]
	v_fmac_f16_e32 v84, v54, v0
	v_fma_f16 v79, v79, v0, -v86
	v_fmac_f16_e32 v82, v53, v1
	v_fma_f16 v78, v78, v1, -v87
	;; [unrolled: 2-line block ×10, first 2 shown]
	v_mul_f16_sdwa v44, v58, v4 dst_sel:DWORD dst_unused:UNUSED_PAD src0_sel:DWORD src1_sel:WORD_1
	v_mul_f16_sdwa v2, v34, v4 dst_sel:DWORD dst_unused:UNUSED_PAD src0_sel:DWORD src1_sel:WORD_1
	;; [unrolled: 1-line block ×20, first 2 shown]
	v_fmac_f16_e32 v44, v34, v4
	v_fma_f16 v47, v58, v4, -v2
	v_fmac_f16_e32 v14, v36, v6
	v_fmac_f16_e32 v12, v37, v7
	v_fma_f16 v4, v61, v7, -v72
	v_fmac_f16_e32 v0, v38, v8
	v_fma_f16 v2, v62, v8, -v73
	v_fmac_f16_e32 v1, v39, v9
	v_fmac_f16_e32 v15, v42, v11
	v_fma_f16 v7, v68, v11, -v76
	v_fmac_f16_e32 v22, v41, v23
	v_fmac_f16_e32 v45, v40, v24
	v_fma_f16 v8, v66, v24, -v86
	v_sub_f16_e32 v11, v79, v54
	v_sub_f16_e32 v24, v78, v71
	;; [unrolled: 1-line block ×5, first 2 shown]
	v_add_f16_e32 v41, v33, v84
	v_fmac_f16_e32 v21, v35, v5
	v_fma_f16 v34, v59, v5, -v3
	v_fma_f16 v6, v60, v6, -v70
	;; [unrolled: 1-line block ×3, first 2 shown]
	v_fmac_f16_e32 v13, v43, v10
	v_fma_f16 v5, v69, v10, -v75
	v_fma_f16 v9, v67, v23, -v77
	v_add_f16_e32 v10, v84, v85
	v_add_f16_e32 v23, v82, v83
	;; [unrolled: 1-line block ×5, first 2 shown]
	v_mul_f16_e32 v42, 0xb853, v11
	v_mul_f16_e32 v43, 0xbb47, v11
	;; [unrolled: 1-line block ×25, first 2 shown]
	v_add_f16_e32 v41, v41, v82
	v_fmamk_f16 v87, v10, 0x3abb, v42
	v_fma_f16 v42, v10, 0x3abb, -v42
	v_fmamk_f16 v88, v10, 0x36a6, v43
	v_fma_f16 v43, v10, 0x36a6, -v43
	;; [unrolled: 2-line block ×25, first 2 shown]
	v_add_f16_e32 v40, v41, v80
	v_add_f16_e32 v41, v33, v87
	;; [unrolled: 1-line block ×56, first 2 shown]
	ds_write_b16 v46, v11 offset:12
	ds_write_b16 v46, v33 offset:24
	;; [unrolled: 1-line block ×5, first 2 shown]
	v_add_f16_e32 v11, v23, v85
	v_add_f16_e32 v24, v75, v24
	ds_write_b16 v46, v10 offset:72
	ds_write_b16 v46, v40 offset:84
	;; [unrolled: 1-line block ×4, first 2 shown]
	ds_write_b16 v46, v11
	ds_write_b16 v46, v24 offset:120
	s_and_saveexec_b32 s1, s0
	s_cbranch_execz .LBB0_16
; %bb.15:
	v_sub_f16_e32 v23, v47, v8
	v_add_f16_e32 v11, v44, v45
	v_sub_f16_e32 v33, v34, v9
	v_add_f16_e32 v24, v21, v22
	v_sub_f16_e32 v36, v6, v7
	v_mul_f16_e32 v41, 0xb482, v23
	v_add_f16_e32 v35, v14, v15
	v_mul_f16_e32 v42, 0x3853, v33
	v_sub_f16_e32 v38, v4, v5
	v_mul_f16_e32 v43, 0xba0c, v36
	v_fma_f16 v60, v11, 0xbbad, -v41
	v_add_f16_e32 v37, v12, v13
	v_fma_f16 v63, v24, 0x3abb, -v42
	v_sub_f16_e32 v40, v2, v3
	v_mul_f16_e32 v58, 0x3b47, v38
	v_add_f16_e32 v60, v30, v60
	v_fma_f16 v66, v35, 0xb93d, -v43
	v_fmac_f16_e32 v41, 0xbbad, v11
	v_add_f16_e32 v39, v0, v1
	v_mul_f16_e32 v59, 0xbbeb, v40
	v_add_f16_e32 v60, v63, v60
	v_mul_f16_e32 v61, 0xba0c, v23
	v_fma_f16 v67, v37, 0x36a6, -v58
	v_fmac_f16_e32 v42, 0x3abb, v24
	v_add_f16_e32 v41, v30, v41
	v_add_f16_e32 v60, v66, v60
	v_mul_f16_e32 v62, 0x3beb, v33
	v_fma_f16 v63, v39, 0xb08e, -v59
	v_fmac_f16_e32 v43, 0xb93d, v35
	v_fma_f16 v66, v11, 0xb93d, -v61
	v_add_f16_e32 v41, v42, v41
	v_add_f16_e32 v42, v67, v60
	v_fmac_f16_e32 v58, 0x36a6, v37
	v_fmac_f16_e32 v59, 0xb08e, v39
	v_add_f16_e32 v60, v30, v66
	v_add_f16_e32 v41, v43, v41
	;; [unrolled: 1-line block ×3, first 2 shown]
	v_fma_f16 v43, v24, 0xb08e, -v62
	v_mul_f16_e32 v63, 0xb853, v36
	v_fmac_f16_e32 v61, 0xb93d, v11
	v_add_f16_e32 v41, v58, v41
	v_fmac_f16_e32 v62, 0xb08e, v24
	v_add_f16_e32 v43, v43, v60
	v_fma_f16 v58, v35, 0x3abb, -v63
	v_mul_f16_e32 v60, 0xb482, v38
	v_add_f16_e32 v41, v59, v41
	v_add_f16_e32 v59, v30, v61
	v_mul_f16_e32 v61, 0xbbeb, v23
	v_add_f16_e32 v43, v58, v43
	v_fma_f16 v58, v37, 0xbbad, -v60
	v_fmac_f16_e32 v63, 0x3abb, v35
	v_add_f16_e32 v59, v62, v59
	v_mul_f16_e32 v62, 0x3482, v33
	v_add_f16_e32 v10, v30, v44
	v_add_f16_e32 v43, v58, v43
	v_fma_f16 v58, v11, 0xb08e, -v61
	v_fmac_f16_e32 v61, 0xb08e, v11
	v_mul_f16_e32 v66, 0x3b47, v40
	v_add_f16_e32 v59, v63, v59
	v_fmac_f16_e32 v60, 0xbbad, v37
	v_add_f16_e32 v58, v30, v58
	v_fma_f16 v63, v24, 0xbbad, -v62
	v_mul_f16_e32 v68, 0x3b47, v36
	v_add_f16_e32 v61, v30, v61
	v_fmac_f16_e32 v62, 0xbbad, v24
	v_add_f16_e32 v10, v10, v21
	v_fma_f16 v67, v39, 0x36a6, -v66
	v_add_f16_e32 v59, v60, v59
	v_add_f16_e32 v58, v63, v58
	v_fma_f16 v60, v35, 0x36a6, -v68
	v_mul_f16_e32 v63, 0xb853, v38
	v_fmac_f16_e32 v66, 0x36a6, v39
	v_add_f16_e32 v61, v62, v61
	v_fmac_f16_e32 v68, 0x36a6, v35
	v_add_f16_e32 v10, v10, v14
	v_add_f16_e32 v43, v67, v43
	;; [unrolled: 1-line block ×3, first 2 shown]
	v_fma_f16 v60, v37, 0x3abb, -v63
	v_mul_f16_e32 v67, 0xbb47, v23
	v_add_f16_e32 v59, v66, v59
	v_mul_f16_e32 v66, 0xba0c, v40
	v_add_f16_e32 v61, v68, v61
	v_fmac_f16_e32 v63, 0x3abb, v37
	v_add_f16_e32 v10, v10, v12
	v_add_f16_e32 v58, v60, v58
	v_fma_f16 v60, v11, 0x36a6, -v67
	v_mul_f16_e32 v62, 0xba0c, v33
	v_fma_f16 v70, v39, 0xb93d, -v66
	v_add_f16_e32 v61, v63, v61
	v_fmac_f16_e32 v66, 0xb93d, v39
	v_fmac_f16_e32 v67, 0x36a6, v11
	v_mul_f16_e32 v23, 0xb853, v23
	v_add_f16_e32 v10, v10, v0
	v_fma_f16 v68, v24, 0xb93d, -v62
	v_add_f16_e32 v58, v70, v58
	v_add_f16_e32 v61, v66, v61
	;; [unrolled: 1-line block ×3, first 2 shown]
	v_fmac_f16_e32 v62, 0xb93d, v24
	v_mul_f16_e32 v33, 0xbb47, v33
	v_fma_f16 v70, v11, 0x3abb, -v23
	v_fmac_f16_e32 v23, 0x3abb, v11
	v_add_f16_e32 v10, v10, v1
	v_add_f16_e32 v60, v30, v60
	v_mul_f16_e32 v69, 0x3482, v36
	v_add_f16_e32 v11, v62, v66
	v_fma_f16 v62, v24, 0x36a6, -v33
	v_mul_f16_e32 v36, 0xbbeb, v36
	v_add_f16_e32 v23, v30, v23
	v_fmac_f16_e32 v33, 0x36a6, v24
	v_add_f16_e32 v10, v10, v13
	v_add_f16_e32 v60, v68, v60
	v_mul_f16_e32 v68, 0x3beb, v38
	v_add_f16_e32 v24, v30, v70
	v_fma_f16 v30, v35, 0xb08e, -v36
	v_mul_f16_e32 v38, 0xba0c, v38
	v_add_f16_e32 v23, v33, v23
	v_fmac_f16_e32 v36, 0xb08e, v35
	v_fma_f16 v63, v35, 0xbbad, -v69
	v_fmac_f16_e32 v69, 0xbbad, v35
	v_add_f16_e32 v10, v10, v15
	v_add_f16_e32 v24, v62, v24
	v_fma_f16 v33, v37, 0xb93d, -v38
	v_add_f16_e32 v23, v36, v23
	v_fmac_f16_e32 v38, 0xb93d, v37
	v_mul_f16_e32 v35, 0xb482, v40
	v_add_f16_e32 v60, v63, v60
	v_fma_f16 v63, v37, 0xb08e, -v68
	v_mul_f16_e32 v67, 0x3853, v40
	v_add_f16_e32 v11, v69, v11
	v_fmac_f16_e32 v68, 0xb08e, v37
	v_add_f16_e32 v10, v10, v22
	v_add_f16_e32 v24, v30, v24
	v_add_f16_e32 v23, v38, v23
	v_mad_u32_u24 v37, 0x84, v32, 0
	v_lshlrev_b32_sdwa v38, v55, v17 dst_sel:DWORD dst_unused:UNUSED_PAD src0_sel:DWORD src1_sel:BYTE_0
	v_fma_f16 v30, v39, 0xbbad, -v35
	v_fmac_f16_e32 v35, 0xbbad, v39
	v_fma_f16 v36, v39, 0x3abb, -v67
	v_add_f16_e32 v11, v68, v11
	v_fmac_f16_e32 v67, 0x3abb, v39
	v_add_f16_e32 v10, v10, v45
	v_add_f16_e32 v39, v63, v60
	;; [unrolled: 1-line block ×3, first 2 shown]
	v_add3_u32 v33, v37, v38, v27
	v_add_f16_e32 v23, v35, v23
	v_add_f16_e32 v11, v67, v11
	;; [unrolled: 1-line block ×4, first 2 shown]
	ds_write_b16 v33, v10
	ds_write_b16 v33, v23 offset:12
	ds_write_b16 v33, v11 offset:24
	;; [unrolled: 1-line block ×10, first 2 shown]
.LBB0_16:
	s_or_b32 exec_lo, exec_lo, s1
	v_add_f16_e32 v10, v31, v79
	v_add_f16_e32 v11, v79, v54
	v_sub_f16_e32 v23, v84, v85
	v_add_f16_e32 v24, v78, v71
	v_sub_f16_e32 v30, v82, v83
	v_add_f16_e32 v10, v10, v78
	v_mul_f16_e32 v33, 0x3abb, v11
	v_mul_f16_e32 v35, 0x36a6, v11
	;; [unrolled: 1-line block ×4, first 2 shown]
	v_add_f16_e32 v10, v10, v52
	v_mul_f16_e32 v11, 0xbbad, v11
	v_mul_f16_e32 v38, 0x36a6, v24
	v_mul_f16_e32 v39, 0xb93d, v24
	v_fmamk_f16 v41, v23, 0x3853, v33
	v_add_f16_e32 v10, v10, v51
	v_fmac_f16_e32 v33, 0xb853, v23
	v_fmamk_f16 v42, v23, 0x3b47, v35
	v_fmac_f16_e32 v35, 0xbb47, v23
	v_mul_f16_e32 v40, 0xbbad, v24
	v_add_f16_e32 v10, v10, v50
	v_fmamk_f16 v43, v23, 0x3beb, v36
	v_fmac_f16_e32 v36, 0xbbeb, v23
	v_fmamk_f16 v55, v23, 0x3a0c, v37
	v_fmac_f16_e32 v37, 0xba0c, v23
	v_add_f16_e32 v10, v10, v49
	v_fmamk_f16 v58, v23, 0x3482, v11
	v_fmac_f16_e32 v11, 0xb482, v23
	v_fmamk_f16 v23, v30, 0x3b47, v38
	v_fmac_f16_e32 v38, 0xbb47, v30
	v_add_f16_e32 v10, v10, v48
	v_fmamk_f16 v59, v30, 0x3a0c, v39
	v_add_f16_e32 v33, v31, v33
	v_add_f16_e32 v35, v31, v35
	v_fmac_f16_e32 v39, 0xba0c, v30
	v_add_f16_e32 v10, v10, v53
	v_add_f16_e32 v41, v31, v41
	;; [unrolled: 1-line block ×12, first 2 shown]
	v_fmamk_f16 v31, v30, 0xb482, v40
	v_fmac_f16_e32 v40, 0x3482, v30
	v_add_f16_e32 v35, v39, v35
	v_mul_f16_e32 v38, 0xb08e, v24
	v_mul_f16_e32 v24, 0x3abb, v24
	v_add_f16_e32 v39, v52, v53
	v_add_f16_e32 v23, v23, v41
	v_add_f16_e32 v33, v59, v42
	v_add_f16_e32 v31, v31, v43
	v_add_f16_e32 v36, v40, v36
	v_fmamk_f16 v40, v30, 0xbbeb, v38
	v_fmac_f16_e32 v38, 0x3beb, v30
	v_fmamk_f16 v41, v30, 0xb853, v24
	v_sub_f16_e32 v42, v80, v81
	v_mul_f16_e32 v43, 0xb08e, v39
	v_fmac_f16_e32 v24, 0x3853, v30
	v_add_f16_e32 v30, v38, v37
	v_add_f16_e32 v37, v41, v58
	v_mul_f16_e32 v41, 0xbbad, v39
	v_fmamk_f16 v38, v42, 0x3beb, v43
	v_add_f16_e32 v11, v24, v11
	v_fmac_f16_e32 v43, 0xbbeb, v42
	v_mul_f16_e32 v24, 0x36a6, v39
	v_add_f16_e32 v40, v40, v55
	v_add_f16_e32 v23, v38, v23
	v_fmamk_f16 v38, v42, 0xb482, v41
	v_add_f16_e32 v10, v43, v10
	v_fmamk_f16 v43, v42, 0xbb47, v24
	v_fmac_f16_e32 v24, 0x3b47, v42
	v_fmac_f16_e32 v41, 0x3482, v42
	v_add_f16_e32 v33, v38, v33
	v_mul_f16_e32 v38, 0x3abb, v39
	v_add_f16_e32 v31, v43, v31
	v_add_f16_e32 v24, v24, v36
	;; [unrolled: 1-line block ×4, first 2 shown]
	v_fmamk_f16 v41, v42, 0x3853, v38
	v_fmac_f16_e32 v38, 0xb853, v42
	v_sub_f16_e32 v43, v64, v65
	v_mul_f16_e32 v48, 0xb93d, v36
	v_mul_f16_e32 v39, 0xb93d, v39
	v_add_f16_e32 v40, v41, v40
	v_add_f16_e32 v30, v38, v30
	v_mul_f16_e32 v41, 0xb08e, v36
	v_fmamk_f16 v38, v43, 0x3a0c, v48
	v_fmamk_f16 v51, v42, 0x3a0c, v39
	v_fmac_f16_e32 v39, 0xba0c, v42
	v_fmac_f16_e32 v48, 0xba0c, v43
	v_mul_f16_e32 v42, 0xbbad, v36
	v_add_f16_e32 v23, v38, v23
	v_mul_f16_e32 v38, 0x3abb, v36
	v_add_f16_e32 v11, v39, v11
	v_fmamk_f16 v39, v43, 0xbbeb, v41
	v_add_f16_e32 v10, v48, v10
	v_add_f16_e32 v37, v51, v37
	v_fmamk_f16 v48, v43, 0x3853, v38
	v_fmac_f16_e32 v38, 0xb853, v43
	v_add_f16_e32 v33, v39, v33
	v_fmamk_f16 v39, v43, 0x3482, v42
	v_mul_f16_e32 v36, 0x36a6, v36
	v_fmac_f16_e32 v42, 0xb482, v43
	v_add_f16_e32 v51, v38, v24
	v_add_f16_e32 v24, v50, v49
	;; [unrolled: 1-line block ×3, first 2 shown]
	v_fmamk_f16 v38, v43, 0xbb47, v36
	v_sub_f16_e32 v39, v56, v57
	v_fmac_f16_e32 v41, 0x3beb, v43
	v_mul_f16_e32 v40, 0xbbad, v24
	v_fmac_f16_e32 v36, 0x3b47, v43
	v_add_f16_e32 v52, v42, v30
	v_add_f16_e32 v53, v38, v37
	v_mul_f16_e32 v30, 0x3abb, v24
	v_fmamk_f16 v37, v39, 0x3482, v40
	v_fmac_f16_e32 v40, 0xb482, v39
	v_mul_f16_e32 v56, 0xb93d, v24
	v_add_f16_e32 v35, v41, v35
	v_add_f16_e32 v31, v48, v31
	;; [unrolled: 1-line block ×3, first 2 shown]
	v_fmamk_f16 v11, v39, 0xb853, v30
	v_fmac_f16_e32 v30, 0x3853, v39
	v_add_f16_e32 v58, v40, v10
	v_fmamk_f16 v10, v39, 0x3a0c, v56
	v_mul_f16_e32 v60, 0x36a6, v24
	v_mul_f16_e32 v62, 0xb08e, v24
	v_add_f16_e32 v57, v37, v23
	v_add_f16_e32 v59, v11, v33
	v_add_f16_e32 v61, v30, v35
	v_add_f16_e32 v63, v10, v31
	v_fmac_f16_e32 v56, 0xba0c, v39
	v_fmamk_f16 v64, v39, 0xbb47, v60
	v_fmac_f16_e32 v60, 0x3b47, v39
	v_fmamk_f16 v65, v39, 0x3beb, v62
	v_fmac_f16_e32 v62, 0xbbeb, v39
	s_waitcnt lgkmcnt(0)
	s_barrier
	buffer_gl0_inv
	ds_read_u16 v42, v26 offset:1320
	ds_read_u16 v35, v26 offset:1452
	;; [unrolled: 1-line block ×6, first 2 shown]
	ds_read_u16 v48, v25
	ds_read_u16 v43, v26 offset:132
	ds_read_u16 v33, v26 offset:264
	;; [unrolled: 1-line block ×11, first 2 shown]
	v_add_f16_e32 v50, v64, v50
	v_add_f16_e32 v51, v56, v51
	;; [unrolled: 1-line block ×5, first 2 shown]
	s_waitcnt lgkmcnt(0)
	s_barrier
	buffer_gl0_inv
	ds_write_b16 v46, v54
	ds_write_b16 v46, v57 offset:12
	ds_write_b16 v46, v59 offset:24
	;; [unrolled: 1-line block ×10, first 2 shown]
	s_and_saveexec_b32 s1, s0
	s_cbranch_execz .LBB0_18
; %bb.17:
	v_add_f16_e32 v46, v29, v47
	v_sub_f16_e32 v21, v21, v22
	v_add_f16_e32 v47, v47, v8
	v_sub_f16_e32 v44, v44, v45
	v_add_f16_e32 v45, v34, v9
	v_add_f16_e32 v22, v46, v34
	v_sub_f16_e32 v14, v14, v15
	v_mul_f16_e32 v34, 0x3abb, v47
	v_mul_f16_e32 v46, 0x36a6, v47
	;; [unrolled: 1-line block ×3, first 2 shown]
	v_add_f16_e32 v22, v22, v6
	v_mul_f16_e32 v51, 0xb93d, v47
	v_mul_f16_e32 v47, 0xbbad, v47
	;; [unrolled: 1-line block ×3, first 2 shown]
	v_fmamk_f16 v55, v44, 0x3853, v34
	v_add_f16_e32 v22, v22, v4
	v_fmac_f16_e32 v34, 0xb853, v44
	v_mul_f16_e32 v53, 0xb93d, v45
	v_fmamk_f16 v56, v44, 0x3b47, v46
	v_fmac_f16_e32 v46, 0xbb47, v44
	v_add_f16_e32 v22, v22, v2
	v_fmamk_f16 v57, v44, 0x3beb, v50
	v_fmac_f16_e32 v50, 0xbbeb, v44
	v_fmamk_f16 v58, v44, 0x3a0c, v51
	v_fmac_f16_e32 v51, 0xba0c, v44
	v_add_f16_e32 v22, v22, v3
	v_fmamk_f16 v59, v44, 0x3482, v47
	v_fmac_f16_e32 v47, 0xb482, v44
	v_fmamk_f16 v44, v21, 0x3b47, v52
	v_fmac_f16_e32 v52, 0xbb47, v21
	v_add_f16_e32 v22, v22, v5
	v_add_f16_e32 v34, v29, v34
	v_mul_f16_e32 v54, 0xbbad, v45
	v_fmamk_f16 v60, v21, 0x3a0c, v53
	v_add_f16_e32 v46, v29, v46
	v_add_f16_e32 v22, v22, v7
	v_fmac_f16_e32 v53, 0xba0c, v21
	v_add_f16_e32 v6, v6, v7
	v_add_f16_e32 v55, v29, v55
	;; [unrolled: 1-line block ×7, first 2 shown]
	v_mul_f16_e32 v15, 0xb08e, v6
	v_add_f16_e32 v8, v9, v8
	v_add_f16_e32 v9, v52, v34
	v_mul_f16_e32 v52, 0xb08e, v45
	v_mul_f16_e32 v45, 0x3abb, v45
	v_add_f16_e32 v57, v29, v57
	v_add_f16_e32 v50, v29, v50
	;; [unrolled: 1-line block ×3, first 2 shown]
	v_fmamk_f16 v7, v21, 0xbbeb, v52
	v_fmac_f16_e32 v52, 0x3beb, v21
	v_fmamk_f16 v53, v21, 0xb853, v45
	v_add_f16_e32 v29, v29, v47
	v_add_f16_e32 v44, v44, v55
	v_fmamk_f16 v34, v21, 0xb482, v54
	v_fmac_f16_e32 v54, 0x3482, v21
	v_fmac_f16_e32 v45, 0x3853, v21
	v_add_f16_e32 v21, v52, v22
	v_add_f16_e32 v22, v53, v51
	v_fmamk_f16 v51, v14, 0x3beb, v15
	v_mul_f16_e32 v52, 0xbbad, v6
	v_add_f16_e32 v47, v60, v56
	v_add_f16_e32 v29, v45, v29
	v_fmac_f16_e32 v15, 0xbbeb, v14
	v_mul_f16_e32 v45, 0x36a6, v6
	v_add_f16_e32 v44, v51, v44
	v_fmamk_f16 v51, v14, 0xb482, v52
	v_add_f16_e32 v34, v34, v57
	v_add_f16_e32 v50, v54, v50
	;; [unrolled: 1-line block ×3, first 2 shown]
	v_fmamk_f16 v15, v14, 0xbb47, v45
	v_fmac_f16_e32 v45, 0x3b47, v14
	v_add_f16_e32 v47, v51, v47
	v_mul_f16_e32 v51, 0x3abb, v6
	v_add_f16_e32 v4, v4, v5
	v_mul_f16_e32 v5, 0xb93d, v6
	v_add_f16_e32 v7, v7, v58
	v_add_f16_e32 v15, v15, v34
	;; [unrolled: 1-line block ×3, first 2 shown]
	v_fmamk_f16 v6, v14, 0x3853, v51
	v_fmac_f16_e32 v51, 0xb853, v14
	v_sub_f16_e32 v12, v12, v13
	v_mul_f16_e32 v13, 0xb93d, v4
	v_fmamk_f16 v45, v14, 0x3a0c, v5
	v_fmac_f16_e32 v52, 0x3482, v14
	v_add_f16_e32 v6, v6, v7
	v_add_f16_e32 v7, v51, v21
	v_fmac_f16_e32 v5, 0xba0c, v14
	v_fmamk_f16 v14, v12, 0x3a0c, v13
	v_add_f16_e32 v21, v45, v22
	v_mul_f16_e32 v22, 0xb08e, v4
	v_fmac_f16_e32 v13, 0xba0c, v12
	v_add_f16_e32 v46, v52, v46
	v_add_f16_e32 v14, v14, v44
	;; [unrolled: 1-line block ×3, first 2 shown]
	v_fmamk_f16 v44, v12, 0xbbeb, v22
	v_add_f16_e32 v9, v13, v9
	v_fmac_f16_e32 v22, 0x3beb, v12
	v_mul_f16_e32 v13, 0xbbad, v4
	v_mul_f16_e32 v29, 0x3abb, v4
	;; [unrolled: 1-line block ×3, first 2 shown]
	v_add_f16_e32 v2, v2, v3
	v_add_f16_e32 v22, v22, v46
	v_fmamk_f16 v46, v12, 0x3482, v13
	v_fmac_f16_e32 v13, 0xb482, v12
	v_sub_f16_e32 v0, v0, v1
	v_mul_f16_e32 v1, 0xbbad, v2
	v_fmamk_f16 v45, v12, 0x3853, v29
	v_add_f16_e32 v3, v46, v6
	v_fmamk_f16 v6, v12, 0xbb47, v4
	v_fmac_f16_e32 v4, 0x3b47, v12
	v_add_f16_e32 v7, v13, v7
	v_fmamk_f16 v13, v0, 0x3482, v1
	v_fmac_f16_e32 v29, 0xb853, v12
	v_mul_f16_e32 v12, 0x3abb, v2
	v_add_f16_e32 v4, v4, v5
	v_mul_f16_e32 v5, 0xb93d, v2
	v_add_f16_e32 v15, v45, v15
	v_add_f16_e32 v13, v13, v14
	;; [unrolled: 1-line block ×4, first 2 shown]
	v_fmamk_f16 v14, v0, 0x3a0c, v5
	v_fmac_f16_e32 v1, 0xb482, v0
	v_fmamk_f16 v21, v0, 0xb853, v12
	v_fmac_f16_e32 v12, 0x3853, v0
	v_add_f16_e32 v29, v29, v34
	v_add_f16_e32 v14, v14, v15
	v_mov_b32_e32 v15, 1
	v_add_f16_e32 v1, v1, v9
	v_add_f16_e32 v9, v21, v44
	v_mul_f16_e32 v21, 0x36a6, v2
	v_fmac_f16_e32 v5, 0xba0c, v0
	v_add_f16_e32 v12, v12, v22
	v_mul_f16_e32 v2, 0xb08e, v2
	v_mad_u32_u24 v22, 0x84, v32, 0
	v_lshlrev_b32_sdwa v15, v15, v17 dst_sel:DWORD dst_unused:UNUSED_PAD src0_sel:DWORD src1_sel:BYTE_0
	v_fmamk_f16 v17, v0, 0xbb47, v21
	v_add_f16_e32 v5, v5, v29
	v_fmac_f16_e32 v21, 0x3b47, v0
	v_fmamk_f16 v29, v0, 0x3beb, v2
	v_fmac_f16_e32 v2, 0xbbeb, v0
	v_add3_u32 v0, v22, v15, v27
	v_add_f16_e32 v3, v17, v3
	v_add_f16_e32 v7, v21, v7
	v_add_f16_e32 v6, v29, v6
	v_add_f16_e32 v2, v2, v4
	ds_write_b16 v0, v8
	ds_write_b16 v0, v13 offset:12
	ds_write_b16 v0, v9 offset:24
	;; [unrolled: 1-line block ×10, first 2 shown]
.LBB0_18:
	s_or_b32 exec_lo, exec_lo, s1
	v_add_nc_u32_e32 v8, 0x84, v16
	v_add_nc_u32_e32 v9, 0xc6, v16
	v_mov_b32_e32 v4, 0xf83f
	v_mov_b32_e32 v17, 0
	v_add_nc_u32_e32 v7, 0x108, v16
	v_and_b32_e32 v0, 0xff, v8
	v_add_nc_u32_e32 v6, 0x14a, v16
	v_mul_u32_u24_sdwa v1, v9, v4 dst_sel:DWORD dst_unused:UNUSED_PAD src0_sel:WORD_0 src1_sel:DWORD
	v_add_nc_u32_e32 v5, 0x18c, v16
	v_mul_u32_u24_sdwa v29, v7, v4 dst_sel:DWORD dst_unused:UNUSED_PAD src0_sel:WORD_0 src1_sel:DWORD
	v_mul_lo_u16 v0, 0xf9, v0
	v_add_nc_u32_e32 v12, 0x1ce, v16
	v_lshrrev_b32_e32 v2, 22, v1
	v_mul_u32_u24_sdwa v32, v6, v4 dst_sel:DWORD dst_unused:UNUSED_PAD src0_sel:WORD_0 src1_sel:DWORD
	v_add_nc_u32_e32 v13, 0x210, v16
	v_lshrrev_b16 v0, 14, v0
	s_waitcnt lgkmcnt(0)
	v_mul_lo_u16 v15, 0x42, v2
	s_barrier
	buffer_gl0_inv
	v_mul_lo_u16 v3, 0x42, v0
	v_lshlrev_b64 v[0:1], 2, v[16:17]
	v_mul_u32_u24_sdwa v44, v5, v4 dst_sel:DWORD dst_unused:UNUSED_PAD src0_sel:WORD_0 src1_sel:DWORD
	v_lshrrev_b32_e32 v21, 22, v32
	v_mul_u32_u24_sdwa v45, v12, v4 dst_sel:DWORD dst_unused:UNUSED_PAD src0_sel:WORD_0 src1_sel:DWORD
	v_sub_nc_u16 v22, v8, v3
	v_mul_u32_u24_sdwa v4, v13, v4 dst_sel:DWORD dst_unused:UNUSED_PAD src0_sel:WORD_0 src1_sel:DWORD
	v_add_co_u32 v2, s0, s8, v0
	v_add_co_ci_u32_e64 v3, s0, s9, v1, s0
	v_lshrrev_b32_e32 v44, 22, v44
	v_mul_lo_u16 v21, 0x42, v21
	v_lshrrev_b32_e32 v45, 22, v45
	global_load_dword v34, v[2:3], off offset:240
	v_lshrrev_b32_e32 v2, 22, v29
	v_mov_b32_e32 v14, 2
	v_sub_nc_u16 v15, v9, v15
	v_sub_nc_u16 v47, v6, v21
	v_mul_lo_u16 v21, 0x42, v45
	v_mul_lo_u16 v2, 0x42, v2
	v_lshlrev_b32_sdwa v16, v14, v22 dst_sel:DWORD dst_unused:UNUSED_PAD src0_sel:DWORD src1_sel:BYTE_0
	v_lshlrev_b32_sdwa v3, v14, v15 dst_sel:DWORD dst_unused:UNUSED_PAD src0_sel:DWORD src1_sel:WORD_0
	v_lshlrev_b32_sdwa v45, v14, v47 dst_sel:DWORD dst_unused:UNUSED_PAD src0_sel:DWORD src1_sel:WORD_0
	v_sub_nc_u16 v12, v12, v21
	v_sub_nc_u16 v46, v7, v2
	v_lshrrev_b32_e32 v2, 22, v4
	v_mul_lo_u16 v4, 0x42, v44
	global_load_dword v51, v16, s[8:9] offset:240
	v_mov_b32_e32 v21, v17
	v_lshlrev_b32_sdwa v44, v14, v46 dst_sel:DWORD dst_unused:UNUSED_PAD src0_sel:DWORD src1_sel:WORD_0
	v_mul_lo_u16 v2, 0x42, v2
	v_sub_nc_u16 v50, v5, v4
	global_load_dword v45, v45, s[8:9] offset:240
	v_mov_b32_e32 v72, 1
	global_load_dword v44, v44, s[8:9] offset:240
	v_sub_nc_u16 v13, v13, v2
	v_lshlrev_b32_sdwa v2, v14, v50 dst_sel:DWORD dst_unused:UNUSED_PAD src0_sel:DWORD src1_sel:WORD_0
	global_load_dword v52, v3, s[8:9] offset:240
	v_lshlrev_b32_sdwa v3, v14, v12 dst_sel:DWORD dst_unused:UNUSED_PAD src0_sel:DWORD src1_sel:WORD_0
	v_lshlrev_b32_e32 v16, 1, v28
	v_lshlrev_b32_sdwa v4, v14, v13 dst_sel:DWORD dst_unused:UNUSED_PAD src0_sel:DWORD src1_sel:WORD_0
	s_clause 0x2
	global_load_dword v14, v2, s[8:9] offset:240
	global_load_dword v53, v3, s[8:9] offset:240
	global_load_dword v54, v4, s[8:9] offset:240
	ds_read_u16 v55, v26 offset:1320
	ds_read_u16 v56, v26 offset:1452
	;; [unrolled: 1-line block ×6, first 2 shown]
	ds_read_u16 v61, v25
	ds_read_u16 v62, v26 offset:132
	ds_read_u16 v63, v26 offset:264
	;; [unrolled: 1-line block ×11, first 2 shown]
	v_lshlrev_b64 v[2:3], 2, v[20:21]
	v_lshlrev_b64 v[4:5], 2, v[16:17]
	v_lshrrev_b32_e32 v16, 23, v29
	v_lshrrev_b32_e32 v20, 23, v32
	v_lshlrev_b32_sdwa v21, v72, v46 dst_sel:DWORD dst_unused:UNUSED_PAD src0_sel:DWORD src1_sel:WORD_0
	v_lshlrev_b32_sdwa v29, v72, v47 dst_sel:DWORD dst_unused:UNUSED_PAD src0_sel:DWORD src1_sel:WORD_0
	;; [unrolled: 1-line block ×3, first 2 shown]
	s_waitcnt vmcnt(0) lgkmcnt(0)
	s_barrier
	buffer_gl0_inv
	v_lshlrev_b32_sdwa v22, v72, v22 dst_sel:DWORD dst_unused:UNUSED_PAD src0_sel:DWORD src1_sel:BYTE_0
	v_lshlrev_b32_sdwa v15, v72, v15 dst_sel:DWORD dst_unused:UNUSED_PAD src0_sel:DWORD src1_sel:WORD_0
	v_lshlrev_b32_sdwa v12, v72, v12 dst_sel:DWORD dst_unused:UNUSED_PAD src0_sel:DWORD src1_sel:WORD_0
	;; [unrolled: 1-line block ×3, first 2 shown]
	v_add3_u32 v21, 0, v21, v27
	v_add3_u32 v22, 0, v22, v27
	;; [unrolled: 1-line block ×7, first 2 shown]
	v_add_co_u32 v2, s0, s8, v2
	v_add_co_ci_u32_e64 v3, s0, s9, v3, s0
	v_add_co_u32 v4, s0, s8, v4
	v_add_co_ci_u32_e64 v5, s0, s9, v5, s0
	v_mul_f16_sdwa v46, v69, v34 dst_sel:DWORD dst_unused:UNUSED_PAD src0_sel:DWORD src1_sel:WORD_1
	v_mul_f16_sdwa v47, v49, v34 dst_sel:DWORD dst_unused:UNUSED_PAD src0_sel:DWORD src1_sel:WORD_1
	;; [unrolled: 1-line block ×4, first 2 shown]
	v_fmac_f16_e32 v46, v49, v34
	v_fma_f16 v47, v69, v34, -v47
	v_fmac_f16_e32 v50, v42, v34
	v_fma_f16 v34, v55, v34, -v73
	v_sub_f16_e32 v42, v48, v46
	v_sub_f16_e32 v46, v61, v47
	v_sub_f16_e32 v47, v43, v50
	v_sub_f16_e32 v34, v62, v34
	ds_write_b16 v26, v42 offset:132
	ds_write_b16 v26, v47 offset:396
	v_fma_f16 v48, v48, 2.0, -v42
	v_fma_f16 v43, v43, 2.0, -v47
	;; [unrolled: 1-line block ×3, first 2 shown]
	v_mul_f16_sdwa v42, v56, v51 dst_sel:DWORD dst_unused:UNUSED_PAD src0_sel:DWORD src1_sel:WORD_1
	v_mul_f16_sdwa v47, v35, v51 dst_sel:DWORD dst_unused:UNUSED_PAD src0_sel:DWORD src1_sel:WORD_1
	;; [unrolled: 1-line block ×5, first 2 shown]
	v_fma_f16 v49, v61, 2.0, -v46
	v_mul_f16_sdwa v61, v36, v52 dst_sel:DWORD dst_unused:UNUSED_PAD src0_sel:DWORD src1_sel:WORD_1
	v_mul_f16_sdwa v69, v37, v44 dst_sel:DWORD dst_unused:UNUSED_PAD src0_sel:DWORD src1_sel:WORD_1
	;; [unrolled: 1-line block ×9, first 2 shown]
	v_fmac_f16_e32 v42, v35, v51
	v_fma_f16 v35, v56, v51, -v47
	v_fmac_f16_e32 v55, v36, v52
	v_fmac_f16_e32 v62, v37, v44
	;; [unrolled: 1-line block ×4, first 2 shown]
	v_fma_f16 v36, v57, v52, -v61
	v_fma_f16 v37, v58, v44, -v69
	;; [unrolled: 1-line block ×3, first 2 shown]
	v_fmac_f16_e32 v75, v39, v14
	v_fma_f16 v14, v60, v14, -v76
	v_fmac_f16_e32 v77, v41, v53
	v_fma_f16 v28, v28, v53, -v78
	v_fma_f16 v39, v71, v54, -v80
	ds_write_b16 v26, v48
	ds_write_b16 v26, v43 offset:264
	v_sub_f16_e32 v40, v33, v42
	v_sub_f16_e32 v35, v63, v35
	;; [unrolled: 1-line block ×14, first 2 shown]
	v_fma_f16 v33, v33, 2.0, -v40
	v_fma_f16 v48, v63, 2.0, -v35
	;; [unrolled: 1-line block ×14, first 2 shown]
	ds_write_b16 v22, v40 offset:660
	ds_write_b16 v15, v41 offset:924
	;; [unrolled: 1-line block ×14, first 2 shown]
	s_waitcnt lgkmcnt(0)
	s_barrier
	buffer_gl0_inv
	ds_read_u16 v23, v26 offset:924
	ds_read_u16 v24, v26 offset:1716
	ds_read_u16 v30, v26 offset:1848
	ds_read_u16 v31, v26 offset:1980
	ds_read_u16 v33, v25
	ds_read_u16 v40, v26 offset:132
	ds_read_u16 v41, v26 offset:264
	;; [unrolled: 1-line block ×13, first 2 shown]
	s_waitcnt lgkmcnt(0)
	s_barrier
	buffer_gl0_inv
	ds_write_b16 v26, v49
	ds_write_b16 v26, v46 offset:132
	ds_write_b16 v26, v50 offset:264
	;; [unrolled: 1-line block ×17, first 2 shown]
	v_mul_lo_u16 v14, 0x84, v16
	v_mul_lo_u16 v16, 0x84, v20
	v_mov_b32_e32 v15, 3
	s_waitcnt lgkmcnt(0)
	s_barrier
	v_sub_nc_u16 v22, v7, v14
	v_sub_nc_u16 v16, v6, v16
	buffer_gl0_inv
	s_clause 0x1
	global_load_dwordx2 v[10:11], v[2:3], off offset:504
	global_load_dwordx2 v[12:13], v[4:5], off offset:504
	v_lshlrev_b32_sdwa v14, v15, v22 dst_sel:DWORD dst_unused:UNUSED_PAD src0_sel:DWORD src1_sel:WORD_0
	v_lshlrev_b32_sdwa v20, v15, v16 dst_sel:DWORD dst_unused:UNUSED_PAD src0_sel:DWORD src1_sel:WORD_0
	s_clause 0x1
	global_load_dwordx2 v[14:15], v14, s[8:9] offset:504
	global_load_dwordx2 v[20:21], v20, s[8:9] offset:504
	v_lshlrev_b32_sdwa v22, v72, v22 dst_sel:DWORD dst_unused:UNUSED_PAD src0_sel:DWORD src1_sel:WORD_0
	v_lshlrev_b32_sdwa v16, v72, v16 dst_sel:DWORD dst_unused:UNUSED_PAD src0_sel:DWORD src1_sel:WORD_0
	v_add3_u32 v34, 0, v22, v27
	v_add3_u32 v16, 0, v16, v27
	ds_read_u16 v22, v26 offset:792
	ds_read_u16 v27, v26 offset:924
	;; [unrolled: 1-line block ×7, first 2 shown]
	ds_read_u16 v37, v25
	ds_read_u16 v38, v26 offset:132
	ds_read_u16 v39, v26 offset:264
	;; [unrolled: 1-line block ×10, first 2 shown]
	s_waitcnt vmcnt(0) lgkmcnt(0)
	s_barrier
	buffer_gl0_inv
	v_mul_f16_sdwa v55, v22, v10 dst_sel:DWORD dst_unused:UNUSED_PAD src0_sel:DWORD src1_sel:WORD_1
	v_mul_f16_sdwa v63, v29, v11 dst_sel:DWORD dst_unused:UNUSED_PAD src0_sel:DWORD src1_sel:WORD_1
	v_mul_f16_sdwa v65, v27, v12 dst_sel:DWORD dst_unused:UNUSED_PAD src0_sel:DWORD src1_sel:WORD_1
	v_mul_f16_sdwa v67, v32, v13 dst_sel:DWORD dst_unused:UNUSED_PAD src0_sel:DWORD src1_sel:WORD_1
	v_mul_f16_sdwa v69, v28, v10 dst_sel:DWORD dst_unused:UNUSED_PAD src0_sel:DWORD src1_sel:WORD_1
	v_mul_f16_sdwa v71, v35, v11 dst_sel:DWORD dst_unused:UNUSED_PAD src0_sel:DWORD src1_sel:WORD_1
	v_mul_f16_sdwa v73, v49, v12 dst_sel:DWORD dst_unused:UNUSED_PAD src0_sel:DWORD src1_sel:WORD_1
	v_mul_f16_sdwa v75, v36, v13 dst_sel:DWORD dst_unused:UNUSED_PAD src0_sel:DWORD src1_sel:WORD_1
	v_mul_f16_sdwa v77, v50, v14 dst_sel:DWORD dst_unused:UNUSED_PAD src0_sel:DWORD src1_sel:WORD_1
	v_mul_f16_sdwa v79, v53, v15 dst_sel:DWORD dst_unused:UNUSED_PAD src0_sel:DWORD src1_sel:WORD_1
	v_mul_f16_sdwa v81, v52, v20 dst_sel:DWORD dst_unused:UNUSED_PAD src0_sel:DWORD src1_sel:WORD_1
	v_mul_f16_sdwa v83, v54, v21 dst_sel:DWORD dst_unused:UNUSED_PAD src0_sel:DWORD src1_sel:WORD_1
	v_mul_f16_sdwa v56, v57, v10 dst_sel:DWORD dst_unused:UNUSED_PAD src0_sel:DWORD src1_sel:WORD_1
	v_mul_f16_sdwa v64, v59, v11 dst_sel:DWORD dst_unused:UNUSED_PAD src0_sel:DWORD src1_sel:WORD_1
	v_mul_f16_sdwa v66, v23, v12 dst_sel:DWORD dst_unused:UNUSED_PAD src0_sel:DWORD src1_sel:WORD_1
	v_mul_f16_sdwa v68, v24, v13 dst_sel:DWORD dst_unused:UNUSED_PAD src0_sel:DWORD src1_sel:WORD_1
	v_mul_f16_sdwa v70, v44, v10 dst_sel:DWORD dst_unused:UNUSED_PAD src0_sel:DWORD src1_sel:WORD_1
	v_mul_f16_sdwa v72, v30, v11 dst_sel:DWORD dst_unused:UNUSED_PAD src0_sel:DWORD src1_sel:WORD_1
	v_mul_f16_sdwa v74, v45, v12 dst_sel:DWORD dst_unused:UNUSED_PAD src0_sel:DWORD src1_sel:WORD_1
	v_mul_f16_sdwa v76, v31, v13 dst_sel:DWORD dst_unused:UNUSED_PAD src0_sel:DWORD src1_sel:WORD_1
	v_mul_f16_sdwa v78, v47, v14 dst_sel:DWORD dst_unused:UNUSED_PAD src0_sel:DWORD src1_sel:WORD_1
	v_mul_f16_sdwa v80, v61, v15 dst_sel:DWORD dst_unused:UNUSED_PAD src0_sel:DWORD src1_sel:WORD_1
	v_mul_f16_sdwa v82, v60, v20 dst_sel:DWORD dst_unused:UNUSED_PAD src0_sel:DWORD src1_sel:WORD_1
	v_mul_f16_sdwa v84, v62, v21 dst_sel:DWORD dst_unused:UNUSED_PAD src0_sel:DWORD src1_sel:WORD_1
	v_fmac_f16_e32 v55, v57, v10
	v_fmac_f16_e32 v63, v59, v11
	;; [unrolled: 1-line block ×12, first 2 shown]
	v_fma_f16 v22, v22, v10, -v56
	v_fma_f16 v29, v29, v11, -v64
	;; [unrolled: 1-line block ×12, first 2 shown]
	v_add_f16_e32 v28, v55, v63
	v_add_f16_e32 v36, v65, v67
	;; [unrolled: 1-line block ×4, first 2 shown]
	v_sub_f16_e32 v54, v69, v71
	v_add_f16_e32 v56, v73, v75
	v_add_f16_e32 v62, v77, v79
	;; [unrolled: 1-line block ×4, first 2 shown]
	v_sub_f16_e32 v30, v22, v29
	v_add_f16_e32 v31, v37, v22
	v_add_f16_e32 v22, v22, v29
	;; [unrolled: 1-line block ×3, first 2 shown]
	v_sub_f16_e32 v44, v23, v24
	v_add_f16_e32 v45, v38, v23
	v_add_f16_e32 v23, v23, v24
	v_sub_f16_e32 v32, v55, v63
	v_sub_f16_e32 v52, v10, v11
	v_add_f16_e32 v53, v39, v10
	v_add_f16_e32 v10, v10, v11
	;; [unrolled: 1-line block ×3, first 2 shown]
	v_sub_f16_e32 v47, v65, v67
	v_sub_f16_e32 v57, v12, v13
	v_add_f16_e32 v59, v46, v12
	v_add_f16_e32 v12, v12, v13
	;; [unrolled: 1-line block ×3, first 2 shown]
	v_sub_f16_e32 v64, v14, v15
	v_add_f16_e32 v65, v48, v14
	v_add_f16_e32 v14, v14, v15
	;; [unrolled: 1-line block ×3, first 2 shown]
	v_sub_f16_e32 v70, v20, v21
	v_add_f16_e32 v72, v51, v20
	v_add_f16_e32 v20, v20, v21
	v_fmac_f16_e32 v33, -0.5, v28
	v_fmac_f16_e32 v40, -0.5, v36
	;; [unrolled: 1-line block ×6, first 2 shown]
	v_add_f16_e32 v27, v27, v63
	v_fmac_f16_e32 v37, -0.5, v22
	v_add_f16_e32 v22, v35, v67
	v_fmac_f16_e32 v38, -0.5, v23
	;; [unrolled: 2-line block ×3, first 2 shown]
	v_add_f16_e32 v10, v55, v75
	v_add_f16_e32 v35, v45, v24
	;; [unrolled: 1-line block ×4, first 2 shown]
	v_fmac_f16_e32 v46, -0.5, v12
	v_add_f16_e32 v11, v61, v79
	v_add_f16_e32 v49, v65, v15
	v_fmac_f16_e32 v48, -0.5, v14
	v_add_f16_e32 v12, v68, v83
	v_add_f16_e32 v50, v72, v21
	v_fmac_f16_e32 v51, -0.5, v20
	v_fmamk_f16 v13, v30, 0xbaee, v33
	v_fmac_f16_e32 v33, 0x3aee, v30
	v_fmamk_f16 v14, v44, 0xbaee, v40
	v_fmamk_f16 v15, v52, 0xbaee, v41
	;; [unrolled: 1-line block ×5, first 2 shown]
	v_add_f16_e32 v63, v31, v29
	v_fmamk_f16 v53, v32, 0x3aee, v37
	v_fmac_f16_e32 v37, 0xbaee, v32
	v_fmac_f16_e32 v40, 0x3aee, v44
	v_fmac_f16_e32 v41, 0x3aee, v52
	v_fmac_f16_e32 v42, 0x3aee, v57
	v_fmac_f16_e32 v43, 0x3aee, v64
	v_fmac_f16_e32 v58, 0x3aee, v70
	ds_write_b16 v26, v27
	ds_write_b16 v26, v22 offset:132
	ds_write_b16 v26, v23 offset:792
	;; [unrolled: 1-line block ×17, first 2 shown]
	s_waitcnt lgkmcnt(0)
	s_barrier
	buffer_gl0_inv
	ds_read_u16 v23, v26 offset:924
	ds_read_u16 v24, v26 offset:1716
	;; [unrolled: 1-line block ×4, first 2 shown]
	ds_read_u16 v12, v25
	ds_read_u16 v14, v26 offset:132
	ds_read_u16 v10, v26 offset:264
	;; [unrolled: 1-line block ×13, first 2 shown]
	v_sub_f16_e32 v60, v73, v75
	v_sub_f16_e32 v66, v77, v79
	;; [unrolled: 1-line block ×3, first 2 shown]
	v_fmamk_f16 v44, v47, 0x3aee, v38
	v_fmac_f16_e32 v38, 0xbaee, v47
	v_fmamk_f16 v47, v54, 0x3aee, v39
	v_fmac_f16_e32 v39, 0xbaee, v54
	;; [unrolled: 2-line block ×5, first 2 shown]
	s_waitcnt lgkmcnt(0)
	s_barrier
	buffer_gl0_inv
	ds_write_b16 v26, v63
	ds_write_b16 v26, v53 offset:264
	ds_write_b16 v26, v37 offset:528
	ds_write_b16 v26, v35 offset:132
	ds_write_b16 v26, v44 offset:396
	ds_write_b16 v26, v38 offset:660
	ds_write_b16 v26, v36 offset:792
	ds_write_b16 v26, v47 offset:1056
	ds_write_b16 v26, v39 offset:1320
	ds_write_b16 v26, v45 offset:924
	ds_write_b16 v26, v52 offset:1188
	ds_write_b16 v26, v46 offset:1452
	ds_write_b16 v34, v49 offset:1584
	ds_write_b16 v34, v54 offset:1848
	ds_write_b16 v34, v48 offset:2112
	ds_write_b16 v16, v50 offset:1584
	ds_write_b16 v16, v55 offset:1848
	ds_write_b16 v16, v51 offset:2112
	s_waitcnt lgkmcnt(0)
	s_barrier
	buffer_gl0_inv
	s_and_saveexec_b32 s0, vcc_lo
	s_cbranch_execz .LBB0_20
; %bb.19:
	v_lshlrev_b32_e32 v16, 1, v6
	v_mul_hi_u32 v6, 0xa57eb503, v6
	v_lshlrev_b64 v[34:35], 2, v[16:17]
	v_lshlrev_b32_e32 v16, 1, v7
	v_mul_hi_u32 v7, 0xa57eb503, v7
	v_lshrrev_b32_e32 v42, 8, v6
	v_lshlrev_b64 v[36:37], 2, v[16:17]
	v_lshlrev_b32_e32 v16, 1, v9
	v_add_co_u32 v34, vcc_lo, s8, v34
	v_add_co_ci_u32_e32 v35, vcc_lo, s9, v35, vcc_lo
	v_lshlrev_b64 v[38:39], 2, v[16:17]
	v_lshlrev_b32_e32 v16, 1, v8
	v_add_co_u32 v36, vcc_lo, s8, v36
	global_load_dwordx2 v[34:35], v[34:35], off offset:1560
	v_add_co_ci_u32_e32 v37, vcc_lo, s9, v37, vcc_lo
	v_lshlrev_b64 v[40:41], 2, v[16:17]
	v_add_co_u32 v38, vcc_lo, s8, v38
	global_load_dwordx2 v[36:37], v[36:37], off offset:1560
	v_add_co_ci_u32_e32 v39, vcc_lo, s9, v39, vcc_lo
	v_add_co_u32 v40, vcc_lo, s8, v40
	s_clause 0x2
	global_load_dwordx2 v[4:5], v[4:5], off offset:1560
	global_load_dwordx2 v[2:3], v[2:3], off offset:1560
	;; [unrolled: 1-line block ×3, first 2 shown]
	v_add_co_ci_u32_e32 v41, vcc_lo, s9, v41, vcc_lo
	v_mul_hi_u32 v8, 0xa57eb503, v8
	v_mul_hi_u32 v9, 0xa57eb503, v9
	v_add_co_u32 v18, vcc_lo, s2, v18
	global_load_dwordx2 v[40:41], v[40:41], off offset:1560
	ds_read_u16 v58, v26 offset:2244
	ds_read_u16 v59, v26 offset:2112
	;; [unrolled: 1-line block ×12, first 2 shown]
	v_add_co_ci_u32_e32 v19, vcc_lo, s3, v19, vcc_lo
	v_lshrrev_b32_e32 v8, 8, v8
	ds_read_u16 v70, v26 offset:660
	ds_read_u16 v71, v26 offset:528
	;; [unrolled: 1-line block ×5, first 2 shown]
	ds_read_u16 v75, v25
	v_lshrrev_b32_e32 v9, 8, v9
	v_add_co_u32 v0, vcc_lo, v18, v0
	v_mul_u32_u24_e32 v16, 0x318, v8
	v_add_co_ci_u32_e32 v1, vcc_lo, v19, v1, vcc_lo
	v_lshrrev_b32_e32 v25, 8, v7
	v_add_co_u32 v8, vcc_lo, 0x800, v0
	v_lshlrev_b64 v[6:7], 2, v[16:17]
	v_mul_u32_u24_e32 v16, 0x318, v9
	v_add_co_ci_u32_e32 v9, vcc_lo, 0, v1, vcc_lo
	v_lshlrev_b64 v[18:19], 2, v[16:17]
	v_mul_u32_u24_e32 v16, 0x318, v25
	v_add_co_u32 v6, vcc_lo, v0, v6
	v_add_co_ci_u32_e32 v7, vcc_lo, v1, v7, vcc_lo
	v_lshlrev_b64 v[25:26], 2, v[16:17]
	v_mul_u32_u24_e32 v16, 0x318, v42
	v_add_co_u32 v42, vcc_lo, 0x210, v6
	v_add_co_ci_u32_e32 v43, vcc_lo, 0, v7, vcc_lo
	v_add_co_u32 v44, vcc_lo, 0x800, v6
	v_add_co_ci_u32_e32 v45, vcc_lo, 0, v7, vcc_lo
	;; [unrolled: 2-line block ×3, first 2 shown]
	v_lshlrev_b64 v[16:17], 2, v[16:17]
	v_add_co_u32 v46, vcc_lo, 0x318, v18
	v_add_co_ci_u32_e32 v47, vcc_lo, 0, v19, vcc_lo
	v_add_co_u32 v25, vcc_lo, v0, v25
	v_add_co_ci_u32_e32 v26, vcc_lo, v1, v26, vcc_lo
	;; [unrolled: 2-line block ×8, first 2 shown]
	s_waitcnt vmcnt(5)
	v_mul_f16_sdwa v76, v32, v34 dst_sel:DWORD dst_unused:UNUSED_PAD src0_sel:DWORD src1_sel:WORD_1
	v_mul_f16_sdwa v77, v33, v35 dst_sel:DWORD dst_unused:UNUSED_PAD src0_sel:DWORD src1_sel:WORD_1
	s_waitcnt lgkmcnt(11)
	v_mul_f16_sdwa v78, v64, v34 dst_sel:DWORD dst_unused:UNUSED_PAD src0_sel:DWORD src1_sel:WORD_1
	v_mul_f16_sdwa v79, v58, v35 dst_sel:DWORD dst_unused:UNUSED_PAD src0_sel:DWORD src1_sel:WORD_1
	v_fma_f16 v64, v64, v34, -v76
	v_fma_f16 v58, v58, v35, -v77
	v_fmac_f16_e32 v78, v32, v34
	v_fmac_f16_e32 v79, v33, v35
	s_waitcnt vmcnt(4)
	v_mul_f16_sdwa v32, v30, v36 dst_sel:DWORD dst_unused:UNUSED_PAD src0_sel:DWORD src1_sel:WORD_1
	v_mul_f16_sdwa v33, v31, v37 dst_sel:DWORD dst_unused:UNUSED_PAD src0_sel:DWORD src1_sel:WORD_1
	s_waitcnt lgkmcnt(10)
	v_mul_f16_sdwa v34, v65, v36 dst_sel:DWORD dst_unused:UNUSED_PAD src0_sel:DWORD src1_sel:WORD_1
	v_mul_f16_sdwa v35, v59, v37 dst_sel:DWORD dst_unused:UNUSED_PAD src0_sel:DWORD src1_sel:WORD_1
	s_waitcnt vmcnt(3)
	v_mul_f16_sdwa v76, v23, v4 dst_sel:DWORD dst_unused:UNUSED_PAD src0_sel:DWORD src1_sel:WORD_1
	v_mul_f16_sdwa v77, v24, v5 dst_sel:DWORD dst_unused:UNUSED_PAD src0_sel:DWORD src1_sel:WORD_1
	s_waitcnt lgkmcnt(7)
	v_mul_f16_sdwa v80, v68, v4 dst_sel:DWORD dst_unused:UNUSED_PAD src0_sel:DWORD src1_sel:WORD_1
	v_mul_f16_sdwa v81, v62, v5 dst_sel:DWORD dst_unused:UNUSED_PAD src0_sel:DWORD src1_sel:WORD_1
	;; [unrolled: 6-line block ×3, first 2 shown]
	v_add_f16_e32 v86, v64, v58
	v_add_f16_e32 v88, v78, v79
	v_sub_f16_e32 v89, v64, v58
	s_waitcnt lgkmcnt(5)
	v_add_f16_e32 v64, v70, v64
	v_fma_f16 v32, v65, v36, -v32
	v_fma_f16 v33, v59, v37, -v33
	v_fmac_f16_e32 v34, v30, v36
	v_fmac_f16_e32 v35, v31, v37
	s_waitcnt vmcnt(1)
	v_mul_f16_sdwa v30, v22, v38 dst_sel:DWORD dst_unused:UNUSED_PAD src0_sel:DWORD src1_sel:WORD_1
	v_mul_f16_sdwa v31, v21, v39 dst_sel:DWORD dst_unused:UNUSED_PAD src0_sel:DWORD src1_sel:WORD_1
	;; [unrolled: 1-line block ×4, first 2 shown]
	v_fma_f16 v59, v68, v4, -v76
	v_fma_f16 v62, v62, v5, -v77
	v_fmac_f16_e32 v80, v23, v4
	v_fmac_f16_e32 v81, v24, v5
	v_fma_f16 v4, v69, v2, -v82
	v_fma_f16 v5, v63, v3, -v83
	v_fmac_f16_e32 v84, v28, v2
	v_fmac_f16_e32 v85, v29, v3
	v_sub_f16_e32 v87, v78, v79
	v_add_f16_e32 v78, v27, v78
	v_fma_f16 v3, -0.5, v88, v27
	v_add_f16_e32 v23, v64, v58
	v_add_f16_e32 v27, v32, v33
	v_sub_f16_e32 v28, v34, v35
	v_add_f16_e32 v29, v34, v35
	v_sub_f16_e32 v58, v32, v33
	s_waitcnt lgkmcnt(4)
	v_add_f16_e32 v32, v71, v32
	v_add_f16_e32 v34, v20, v34
	v_fma_f16 v30, v66, v38, -v30
	v_fma_f16 v31, v60, v39, -v31
	v_fmac_f16_e32 v36, v22, v38
	v_fmac_f16_e32 v37, v21, v39
	s_waitcnt vmcnt(0)
	v_mul_f16_sdwa v21, v15, v40 dst_sel:DWORD dst_unused:UNUSED_PAD src0_sel:DWORD src1_sel:WORD_1
	v_mul_f16_sdwa v22, v13, v41 dst_sel:DWORD dst_unused:UNUSED_PAD src0_sel:DWORD src1_sel:WORD_1
	;; [unrolled: 1-line block ×4, first 2 shown]
	v_fma_f16 v2, -0.5, v86, v70
	v_add_f16_e32 v68, v4, v5
	v_add_f16_e32 v70, v84, v85
	v_sub_f16_e32 v76, v4, v5
	s_waitcnt lgkmcnt(0)
	v_add_f16_e32 v4, v75, v4
	v_add_f16_e32 v77, v12, v84
	v_add_f16_e32 v24, v78, v79
	v_add_f16_e32 v60, v59, v62
	v_add_f16_e32 v64, v80, v81
	v_sub_f16_e32 v65, v59, v62
	v_add_f16_e32 v59, v74, v59
	v_add_f16_e32 v66, v14, v80
	v_fma_f16 v27, -0.5, v27, v71
	v_fma_f16 v20, -0.5, v29, v20
	v_add_f16_e32 v29, v32, v33
	v_add_f16_e32 v32, v34, v35
	;; [unrolled: 1-line block ×3, first 2 shown]
	v_sub_f16_e32 v34, v36, v37
	v_add_f16_e32 v35, v36, v37
	v_sub_f16_e32 v71, v30, v31
	v_add_f16_e32 v30, v72, v30
	v_add_f16_e32 v36, v11, v36
	v_fma_f16 v21, v67, v40, -v21
	v_fma_f16 v22, v61, v41, -v22
	v_fmac_f16_e32 v38, v15, v40
	v_fmac_f16_e32 v39, v13, v41
	v_sub_f16_e32 v69, v84, v85
	v_fma_f16 v41, -0.5, v68, v75
	v_fma_f16 v12, -0.5, v70, v12
	v_add_f16_e32 v4, v4, v5
	v_add_f16_e32 v5, v77, v85
	v_sub_f16_e32 v63, v80, v81
	v_fma_f16 v13, -0.5, v60, v74
	v_fma_f16 v14, -0.5, v64, v14
	v_add_f16_e32 v15, v59, v62
	v_add_f16_e32 v40, v66, v81
	v_pack_b32_f16 v23, v24, v23
	v_fmamk_f16 v24, v28, 0xbaee, v27
	v_fmac_f16_e32 v27, 0x3aee, v28
	v_fma_f16 v28, -0.5, v33, v72
	v_add_f16_e32 v30, v30, v31
	v_add_f16_e32 v31, v36, v37
	;; [unrolled: 1-line block ×4, first 2 shown]
	v_fma_f16 v11, -0.5, v35, v11
	v_sub_f16_e32 v35, v38, v39
	v_sub_f16_e32 v37, v21, v22
	v_add_f16_e32 v21, v73, v21
	v_add_f16_e32 v38, v10, v38
	v_fmamk_f16 v61, v69, 0xbaee, v41
	v_fmamk_f16 v62, v76, 0x3aee, v12
	v_fmac_f16_e32 v41, 0x3aee, v69
	v_fmac_f16_e32 v12, 0xbaee, v76
	v_pack_b32_f16 v4, v5, v4
	v_fmamk_f16 v59, v58, 0x3aee, v20
	v_fmac_f16_e32 v20, 0xbaee, v58
	v_fmamk_f16 v58, v63, 0xbaee, v13
	v_fmamk_f16 v60, v65, 0x3aee, v14
	v_fmac_f16_e32 v13, 0x3aee, v63
	v_fmac_f16_e32 v14, 0xbaee, v65
	v_pack_b32_f16 v5, v40, v15
	v_fma_f16 v33, -0.5, v33, v73
	v_fma_f16 v10, -0.5, v36, v10
	v_add_f16_e32 v21, v21, v22
	v_add_f16_e32 v22, v38, v39
	global_store_dword v[0:1], v4, off
	v_pack_b32_f16 v4, v12, v41
	v_pack_b32_f16 v12, v62, v61
	global_store_dword v[0:1], v5, off offset:264
	v_pack_b32_f16 v5, v14, v13
	v_pack_b32_f16 v14, v31, v30
	;; [unrolled: 1-line block ×3, first 2 shown]
	v_fmamk_f16 v27, v35, 0xbaee, v33
	v_fmamk_f16 v30, v37, 0x3aee, v10
	v_fmac_f16_e32 v33, 0x3aee, v35
	v_fmac_f16_e32 v10, 0xbaee, v37
	v_pack_b32_f16 v13, v60, v58
	v_pack_b32_f16 v15, v32, v29
	v_fmamk_f16 v29, v34, 0xbaee, v28
	v_fmamk_f16 v32, v71, 0x3aee, v11
	v_fmac_f16_e32 v28, 0x3aee, v34
	v_fmac_f16_e32 v11, 0xbaee, v71
	v_fmamk_f16 v78, v87, 0xbaee, v2
	v_fmamk_f16 v79, v89, 0x3aee, v3
	v_fmac_f16_e32 v2, 0x3aee, v87
	v_fmac_f16_e32 v3, 0xbaee, v89
	global_store_dword v[0:1], v4, off offset:1584
	global_store_dword v[8:9], v12, off offset:1120
	;; [unrolled: 1-line block ×4, first 2 shown]
	v_pack_b32_f16 v0, v22, v21
	v_pack_b32_f16 v1, v10, v33
	;; [unrolled: 1-line block ×8, first 2 shown]
	global_store_dword v[6:7], v0, off offset:528
	global_store_dword v[42:43], v1, off offset:1584
	;; [unrolled: 1-line block ×12, first 2 shown]
.LBB0_20:
	s_endpgm
	.section	.rodata,"a",@progbits
	.p2align	6, 0x0
	.amdhsa_kernel fft_rtc_back_len1188_factors_6_11_2_3_3_wgs_198_tpt_66_halfLds_half_ip_CI_unitstride_sbrr_dirReg
		.amdhsa_group_segment_fixed_size 0
		.amdhsa_private_segment_fixed_size 0
		.amdhsa_kernarg_size 88
		.amdhsa_user_sgpr_count 6
		.amdhsa_user_sgpr_private_segment_buffer 1
		.amdhsa_user_sgpr_dispatch_ptr 0
		.amdhsa_user_sgpr_queue_ptr 0
		.amdhsa_user_sgpr_kernarg_segment_ptr 1
		.amdhsa_user_sgpr_dispatch_id 0
		.amdhsa_user_sgpr_flat_scratch_init 0
		.amdhsa_user_sgpr_private_segment_size 0
		.amdhsa_wavefront_size32 1
		.amdhsa_uses_dynamic_stack 0
		.amdhsa_system_sgpr_private_segment_wavefront_offset 0
		.amdhsa_system_sgpr_workgroup_id_x 1
		.amdhsa_system_sgpr_workgroup_id_y 0
		.amdhsa_system_sgpr_workgroup_id_z 0
		.amdhsa_system_sgpr_workgroup_info 0
		.amdhsa_system_vgpr_workitem_id 0
		.amdhsa_next_free_vgpr 108
		.amdhsa_next_free_sgpr 21
		.amdhsa_reserve_vcc 1
		.amdhsa_reserve_flat_scratch 0
		.amdhsa_float_round_mode_32 0
		.amdhsa_float_round_mode_16_64 0
		.amdhsa_float_denorm_mode_32 3
		.amdhsa_float_denorm_mode_16_64 3
		.amdhsa_dx10_clamp 1
		.amdhsa_ieee_mode 1
		.amdhsa_fp16_overflow 0
		.amdhsa_workgroup_processor_mode 1
		.amdhsa_memory_ordered 1
		.amdhsa_forward_progress 0
		.amdhsa_shared_vgpr_count 0
		.amdhsa_exception_fp_ieee_invalid_op 0
		.amdhsa_exception_fp_denorm_src 0
		.amdhsa_exception_fp_ieee_div_zero 0
		.amdhsa_exception_fp_ieee_overflow 0
		.amdhsa_exception_fp_ieee_underflow 0
		.amdhsa_exception_fp_ieee_inexact 0
		.amdhsa_exception_int_div_zero 0
	.end_amdhsa_kernel
	.text
.Lfunc_end0:
	.size	fft_rtc_back_len1188_factors_6_11_2_3_3_wgs_198_tpt_66_halfLds_half_ip_CI_unitstride_sbrr_dirReg, .Lfunc_end0-fft_rtc_back_len1188_factors_6_11_2_3_3_wgs_198_tpt_66_halfLds_half_ip_CI_unitstride_sbrr_dirReg
                                        ; -- End function
	.section	.AMDGPU.csdata,"",@progbits
; Kernel info:
; codeLenInByte = 13252
; NumSgprs: 23
; NumVgprs: 108
; ScratchSize: 0
; MemoryBound: 0
; FloatMode: 240
; IeeeMode: 1
; LDSByteSize: 0 bytes/workgroup (compile time only)
; SGPRBlocks: 2
; VGPRBlocks: 13
; NumSGPRsForWavesPerEU: 23
; NumVGPRsForWavesPerEU: 108
; Occupancy: 9
; WaveLimiterHint : 1
; COMPUTE_PGM_RSRC2:SCRATCH_EN: 0
; COMPUTE_PGM_RSRC2:USER_SGPR: 6
; COMPUTE_PGM_RSRC2:TRAP_HANDLER: 0
; COMPUTE_PGM_RSRC2:TGID_X_EN: 1
; COMPUTE_PGM_RSRC2:TGID_Y_EN: 0
; COMPUTE_PGM_RSRC2:TGID_Z_EN: 0
; COMPUTE_PGM_RSRC2:TIDIG_COMP_CNT: 0
	.text
	.p2alignl 6, 3214868480
	.fill 48, 4, 3214868480
	.type	__hip_cuid_d2a1515d404cc152,@object ; @__hip_cuid_d2a1515d404cc152
	.section	.bss,"aw",@nobits
	.globl	__hip_cuid_d2a1515d404cc152
__hip_cuid_d2a1515d404cc152:
	.byte	0                               ; 0x0
	.size	__hip_cuid_d2a1515d404cc152, 1

	.ident	"AMD clang version 19.0.0git (https://github.com/RadeonOpenCompute/llvm-project roc-6.4.0 25133 c7fe45cf4b819c5991fe208aaa96edf142730f1d)"
	.section	".note.GNU-stack","",@progbits
	.addrsig
	.addrsig_sym __hip_cuid_d2a1515d404cc152
	.amdgpu_metadata
---
amdhsa.kernels:
  - .args:
      - .actual_access:  read_only
        .address_space:  global
        .offset:         0
        .size:           8
        .value_kind:     global_buffer
      - .offset:         8
        .size:           8
        .value_kind:     by_value
      - .actual_access:  read_only
        .address_space:  global
        .offset:         16
        .size:           8
        .value_kind:     global_buffer
      - .actual_access:  read_only
        .address_space:  global
        .offset:         24
        .size:           8
        .value_kind:     global_buffer
      - .offset:         32
        .size:           8
        .value_kind:     by_value
      - .actual_access:  read_only
        .address_space:  global
        .offset:         40
        .size:           8
        .value_kind:     global_buffer
      - .actual_access:  read_only
        .address_space:  global
        .offset:         48
        .size:           8
        .value_kind:     global_buffer
      - .offset:         56
        .size:           4
        .value_kind:     by_value
      - .actual_access:  read_only
        .address_space:  global
        .offset:         64
        .size:           8
        .value_kind:     global_buffer
      - .actual_access:  read_only
        .address_space:  global
        .offset:         72
        .size:           8
        .value_kind:     global_buffer
      - .address_space:  global
        .offset:         80
        .size:           8
        .value_kind:     global_buffer
    .group_segment_fixed_size: 0
    .kernarg_segment_align: 8
    .kernarg_segment_size: 88
    .language:       OpenCL C
    .language_version:
      - 2
      - 0
    .max_flat_workgroup_size: 198
    .name:           fft_rtc_back_len1188_factors_6_11_2_3_3_wgs_198_tpt_66_halfLds_half_ip_CI_unitstride_sbrr_dirReg
    .private_segment_fixed_size: 0
    .sgpr_count:     23
    .sgpr_spill_count: 0
    .symbol:         fft_rtc_back_len1188_factors_6_11_2_3_3_wgs_198_tpt_66_halfLds_half_ip_CI_unitstride_sbrr_dirReg.kd
    .uniform_work_group_size: 1
    .uses_dynamic_stack: false
    .vgpr_count:     108
    .vgpr_spill_count: 0
    .wavefront_size: 32
    .workgroup_processor_mode: 1
amdhsa.target:   amdgcn-amd-amdhsa--gfx1030
amdhsa.version:
  - 1
  - 2
...

	.end_amdgpu_metadata
